;; amdgpu-corpus repo=ROCm/hipCUB kind=compiled arch=gfx906 opt=O3
	.amdgcn_target "amdgcn-amd-amdhsa--gfx906"
	.amdhsa_code_object_version 6
	.section	.text._Z6kernelI14inclusive_scaniLj60ELj15ELj100EEvPKT0_PS1_S1_,"axG",@progbits,_Z6kernelI14inclusive_scaniLj60ELj15ELj100EEvPKT0_PS1_S1_,comdat
	.protected	_Z6kernelI14inclusive_scaniLj60ELj15ELj100EEvPKT0_PS1_S1_ ; -- Begin function _Z6kernelI14inclusive_scaniLj60ELj15ELj100EEvPKT0_PS1_S1_
	.globl	_Z6kernelI14inclusive_scaniLj60ELj15ELj100EEvPKT0_PS1_S1_
	.p2align	8
	.type	_Z6kernelI14inclusive_scaniLj60ELj15ELj100EEvPKT0_PS1_S1_,@function
_Z6kernelI14inclusive_scaniLj60ELj15ELj100EEvPKT0_PS1_S1_: ; @_Z6kernelI14inclusive_scaniLj60ELj15ELj100EEvPKT0_PS1_S1_
; %bb.0:
	s_load_dword s0, s[4:5], 0x24
	s_load_dwordx4 s[8:11], s[4:5], 0x0
	v_mov_b32_e32 v1, 0
	s_waitcnt lgkmcnt(0)
	s_and_b32 s0, s0, 0xffff
	s_mul_i32 s6, s6, s0
	v_add_u32_e32 v0, s6, v0
	v_lshlrev_b64 v[0:1], 2, v[0:1]
	v_mov_b32_e32 v3, s9
	v_add_co_u32_e32 v2, vcc, s8, v0
	v_addc_co_u32_e32 v3, vcc, v3, v1, vcc
	global_load_dword v2, v[2:3], off
	v_mbcnt_lo_u32_b32 v3, -1, 0
	v_mbcnt_hi_u32_b32 v3, -1, v3
	s_mov_b32 s0, 0x11111112
	v_mul_hi_u32 v4, v3, s0
	s_movk_i32 s8, 0x64
	v_mul_u32_u24_e32 v4, 15, v4
	v_sub_u32_e32 v4, v3, v4
	v_lshlrev_b32_e32 v3, 2, v4
	v_cmp_ne_u32_e32 vcc, 0, v4
	v_cmp_lt_u32_e64 s[0:1], 1, v4
	v_cmp_lt_u32_e64 s[2:3], 3, v4
	;; [unrolled: 1-line block ×3, first 2 shown]
	v_add_u32_e32 v4, -4, v3
	v_add_u32_e32 v5, -8, v3
	;; [unrolled: 1-line block ×3, first 2 shown]
	v_subrev_u32_e32 v7, 32, v3
	s_branch .LBB0_2
.LBB0_1:                                ;   in Loop: Header=BB0_2 Depth=1
	s_or_b64 exec, exec, s[6:7]
	s_add_i32 s8, s8, -1
	s_cmp_lg_u32 s8, 0
	; wave barrier
	s_cbranch_scc0 .LBB0_18
.LBB0_2:                                ; =>This Inner Loop Header: Depth=1
	s_waitcnt vmcnt(0)
	ds_write_b32 v3, v2
	; wave barrier
	s_and_saveexec_b64 s[6:7], vcc
	s_cbranch_execz .LBB0_4
; %bb.3:                                ;   in Loop: Header=BB0_2 Depth=1
	ds_read_b32 v8, v4
	s_waitcnt lgkmcnt(0)
	v_add_u32_e32 v2, v8, v2
.LBB0_4:                                ;   in Loop: Header=BB0_2 Depth=1
	s_or_b64 exec, exec, s[6:7]
	; wave barrier
	s_and_saveexec_b64 s[6:7], vcc
; %bb.5:                                ;   in Loop: Header=BB0_2 Depth=1
	ds_write_b32 v3, v2
; %bb.6:                                ;   in Loop: Header=BB0_2 Depth=1
	s_or_b64 exec, exec, s[6:7]
	; wave barrier
	s_and_saveexec_b64 s[6:7], s[0:1]
	s_cbranch_execz .LBB0_8
; %bb.7:                                ;   in Loop: Header=BB0_2 Depth=1
	ds_read_b32 v8, v5
	s_waitcnt lgkmcnt(0)
	v_add_u32_e32 v2, v8, v2
.LBB0_8:                                ;   in Loop: Header=BB0_2 Depth=1
	s_or_b64 exec, exec, s[6:7]
	; wave barrier
	s_and_saveexec_b64 s[6:7], s[0:1]
; %bb.9:                                ;   in Loop: Header=BB0_2 Depth=1
	ds_write_b32 v3, v2
; %bb.10:                               ;   in Loop: Header=BB0_2 Depth=1
	s_or_b64 exec, exec, s[6:7]
	; wave barrier
	s_and_saveexec_b64 s[6:7], s[2:3]
	s_cbranch_execz .LBB0_12
; %bb.11:                               ;   in Loop: Header=BB0_2 Depth=1
	ds_read_b32 v8, v6
	s_waitcnt lgkmcnt(0)
	v_add_u32_e32 v2, v8, v2
.LBB0_12:                               ;   in Loop: Header=BB0_2 Depth=1
	s_or_b64 exec, exec, s[6:7]
	; wave barrier
	s_and_saveexec_b64 s[6:7], s[2:3]
; %bb.13:                               ;   in Loop: Header=BB0_2 Depth=1
	ds_write_b32 v3, v2
; %bb.14:                               ;   in Loop: Header=BB0_2 Depth=1
	s_or_b64 exec, exec, s[6:7]
	; wave barrier
	s_and_saveexec_b64 s[6:7], s[4:5]
	s_cbranch_execz .LBB0_16
; %bb.15:                               ;   in Loop: Header=BB0_2 Depth=1
	ds_read_b32 v8, v7
	s_waitcnt lgkmcnt(0)
	v_add_u32_e32 v2, v8, v2
.LBB0_16:                               ;   in Loop: Header=BB0_2 Depth=1
	s_or_b64 exec, exec, s[6:7]
	; wave barrier
	s_and_saveexec_b64 s[6:7], s[4:5]
	s_cbranch_execz .LBB0_1
; %bb.17:                               ;   in Loop: Header=BB0_2 Depth=1
	ds_write_b32 v3, v2
	s_branch .LBB0_1
.LBB0_18:
	v_mov_b32_e32 v3, s11
	v_add_co_u32_e32 v0, vcc, s10, v0
	v_addc_co_u32_e32 v1, vcc, v3, v1, vcc
	global_store_dword v[0:1], v2, off
	s_endpgm
	.section	.rodata,"a",@progbits
	.p2align	6, 0x0
	.amdhsa_kernel _Z6kernelI14inclusive_scaniLj60ELj15ELj100EEvPKT0_PS1_S1_
		.amdhsa_group_segment_fixed_size 60
		.amdhsa_private_segment_fixed_size 0
		.amdhsa_kernarg_size 280
		.amdhsa_user_sgpr_count 6
		.amdhsa_user_sgpr_private_segment_buffer 1
		.amdhsa_user_sgpr_dispatch_ptr 0
		.amdhsa_user_sgpr_queue_ptr 0
		.amdhsa_user_sgpr_kernarg_segment_ptr 1
		.amdhsa_user_sgpr_dispatch_id 0
		.amdhsa_user_sgpr_flat_scratch_init 0
		.amdhsa_user_sgpr_private_segment_size 0
		.amdhsa_uses_dynamic_stack 0
		.amdhsa_system_sgpr_private_segment_wavefront_offset 0
		.amdhsa_system_sgpr_workgroup_id_x 1
		.amdhsa_system_sgpr_workgroup_id_y 0
		.amdhsa_system_sgpr_workgroup_id_z 0
		.amdhsa_system_sgpr_workgroup_info 0
		.amdhsa_system_vgpr_workitem_id 0
		.amdhsa_next_free_vgpr 9
		.amdhsa_next_free_sgpr 12
		.amdhsa_reserve_vcc 1
		.amdhsa_reserve_flat_scratch 0
		.amdhsa_float_round_mode_32 0
		.amdhsa_float_round_mode_16_64 0
		.amdhsa_float_denorm_mode_32 3
		.amdhsa_float_denorm_mode_16_64 3
		.amdhsa_dx10_clamp 1
		.amdhsa_ieee_mode 1
		.amdhsa_fp16_overflow 0
		.amdhsa_exception_fp_ieee_invalid_op 0
		.amdhsa_exception_fp_denorm_src 0
		.amdhsa_exception_fp_ieee_div_zero 0
		.amdhsa_exception_fp_ieee_overflow 0
		.amdhsa_exception_fp_ieee_underflow 0
		.amdhsa_exception_fp_ieee_inexact 0
		.amdhsa_exception_int_div_zero 0
	.end_amdhsa_kernel
	.section	.text._Z6kernelI14inclusive_scaniLj60ELj15ELj100EEvPKT0_PS1_S1_,"axG",@progbits,_Z6kernelI14inclusive_scaniLj60ELj15ELj100EEvPKT0_PS1_S1_,comdat
.Lfunc_end0:
	.size	_Z6kernelI14inclusive_scaniLj60ELj15ELj100EEvPKT0_PS1_S1_, .Lfunc_end0-_Z6kernelI14inclusive_scaniLj60ELj15ELj100EEvPKT0_PS1_S1_
                                        ; -- End function
	.set _Z6kernelI14inclusive_scaniLj60ELj15ELj100EEvPKT0_PS1_S1_.num_vgpr, 9
	.set _Z6kernelI14inclusive_scaniLj60ELj15ELj100EEvPKT0_PS1_S1_.num_agpr, 0
	.set _Z6kernelI14inclusive_scaniLj60ELj15ELj100EEvPKT0_PS1_S1_.numbered_sgpr, 12
	.set _Z6kernelI14inclusive_scaniLj60ELj15ELj100EEvPKT0_PS1_S1_.num_named_barrier, 0
	.set _Z6kernelI14inclusive_scaniLj60ELj15ELj100EEvPKT0_PS1_S1_.private_seg_size, 0
	.set _Z6kernelI14inclusive_scaniLj60ELj15ELj100EEvPKT0_PS1_S1_.uses_vcc, 1
	.set _Z6kernelI14inclusive_scaniLj60ELj15ELj100EEvPKT0_PS1_S1_.uses_flat_scratch, 0
	.set _Z6kernelI14inclusive_scaniLj60ELj15ELj100EEvPKT0_PS1_S1_.has_dyn_sized_stack, 0
	.set _Z6kernelI14inclusive_scaniLj60ELj15ELj100EEvPKT0_PS1_S1_.has_recursion, 0
	.set _Z6kernelI14inclusive_scaniLj60ELj15ELj100EEvPKT0_PS1_S1_.has_indirect_call, 0
	.section	.AMDGPU.csdata,"",@progbits
; Kernel info:
; codeLenInByte = 396
; TotalNumSgprs: 16
; NumVgprs: 9
; ScratchSize: 0
; MemoryBound: 0
; FloatMode: 240
; IeeeMode: 1
; LDSByteSize: 60 bytes/workgroup (compile time only)
; SGPRBlocks: 1
; VGPRBlocks: 2
; NumSGPRsForWavesPerEU: 16
; NumVGPRsForWavesPerEU: 9
; Occupancy: 10
; WaveLimiterHint : 0
; COMPUTE_PGM_RSRC2:SCRATCH_EN: 0
; COMPUTE_PGM_RSRC2:USER_SGPR: 6
; COMPUTE_PGM_RSRC2:TRAP_HANDLER: 0
; COMPUTE_PGM_RSRC2:TGID_X_EN: 1
; COMPUTE_PGM_RSRC2:TGID_Y_EN: 0
; COMPUTE_PGM_RSRC2:TGID_Z_EN: 0
; COMPUTE_PGM_RSRC2:TIDIG_COMP_CNT: 0
	.section	.text._Z6kernelI14inclusive_scaniLj256ELj16ELj100EEvPKT0_PS1_S1_,"axG",@progbits,_Z6kernelI14inclusive_scaniLj256ELj16ELj100EEvPKT0_PS1_S1_,comdat
	.protected	_Z6kernelI14inclusive_scaniLj256ELj16ELj100EEvPKT0_PS1_S1_ ; -- Begin function _Z6kernelI14inclusive_scaniLj256ELj16ELj100EEvPKT0_PS1_S1_
	.globl	_Z6kernelI14inclusive_scaniLj256ELj16ELj100EEvPKT0_PS1_S1_
	.p2align	8
	.type	_Z6kernelI14inclusive_scaniLj256ELj16ELj100EEvPKT0_PS1_S1_,@function
_Z6kernelI14inclusive_scaniLj256ELj16ELj100EEvPKT0_PS1_S1_: ; @_Z6kernelI14inclusive_scaniLj256ELj16ELj100EEvPKT0_PS1_S1_
; %bb.0:
	s_load_dword s0, s[4:5], 0x24
	s_load_dwordx4 s[8:11], s[4:5], 0x0
	v_mov_b32_e32 v1, 0
	s_waitcnt lgkmcnt(0)
	s_and_b32 s0, s0, 0xffff
	s_mul_i32 s6, s6, s0
	v_add_u32_e32 v0, s6, v0
	v_lshlrev_b64 v[0:1], 2, v[0:1]
	v_mov_b32_e32 v3, s9
	v_add_co_u32_e32 v2, vcc, s8, v0
	v_addc_co_u32_e32 v3, vcc, v3, v1, vcc
	global_load_dword v2, v[2:3], off
	v_mbcnt_lo_u32_b32 v3, -1, 0
	v_mbcnt_hi_u32_b32 v3, -1, v3
	v_and_b32_e32 v3, 15, v3
	v_cmp_eq_u32_e32 vcc, 0, v3
	v_cmp_lt_u32_e64 s[0:1], 1, v3
	v_cmp_lt_u32_e64 s[2:3], 3, v3
	;; [unrolled: 1-line block ×3, first 2 shown]
	s_movk_i32 s6, 0x64
.LBB1_1:                                ; =>This Inner Loop Header: Depth=1
	s_waitcnt vmcnt(0)
	v_mov_b32_dpp v3, v2 row_shr:1 row_mask:0xf bank_mask:0xf
	v_cndmask_b32_e64 v3, v3, 0, vcc
	v_add_u32_e32 v2, v3, v2
	s_add_i32 s6, s6, -1
	s_cmp_lg_u32 s6, 0
	v_mov_b32_dpp v3, v2 row_shr:2 row_mask:0xf bank_mask:0xf
	v_cndmask_b32_e64 v3, 0, v3, s[0:1]
	v_add_u32_e32 v2, v2, v3
	s_nop 1
	v_mov_b32_dpp v3, v2 row_shr:4 row_mask:0xf bank_mask:0xf
	v_cndmask_b32_e64 v3, 0, v3, s[2:3]
	v_add_u32_e32 v2, v2, v3
	s_nop 1
	v_mov_b32_dpp v3, v2 row_shr:8 row_mask:0xf bank_mask:0xf
	v_cndmask_b32_e64 v3, 0, v3, s[4:5]
	v_add_u32_e32 v2, v2, v3
	s_cbranch_scc1 .LBB1_1
; %bb.2:
	v_mov_b32_e32 v3, s11
	v_add_co_u32_e32 v0, vcc, s10, v0
	v_addc_co_u32_e32 v1, vcc, v3, v1, vcc
	global_store_dword v[0:1], v2, off
	s_endpgm
	.section	.rodata,"a",@progbits
	.p2align	6, 0x0
	.amdhsa_kernel _Z6kernelI14inclusive_scaniLj256ELj16ELj100EEvPKT0_PS1_S1_
		.amdhsa_group_segment_fixed_size 0
		.amdhsa_private_segment_fixed_size 0
		.amdhsa_kernarg_size 280
		.amdhsa_user_sgpr_count 6
		.amdhsa_user_sgpr_private_segment_buffer 1
		.amdhsa_user_sgpr_dispatch_ptr 0
		.amdhsa_user_sgpr_queue_ptr 0
		.amdhsa_user_sgpr_kernarg_segment_ptr 1
		.amdhsa_user_sgpr_dispatch_id 0
		.amdhsa_user_sgpr_flat_scratch_init 0
		.amdhsa_user_sgpr_private_segment_size 0
		.amdhsa_uses_dynamic_stack 0
		.amdhsa_system_sgpr_private_segment_wavefront_offset 0
		.amdhsa_system_sgpr_workgroup_id_x 1
		.amdhsa_system_sgpr_workgroup_id_y 0
		.amdhsa_system_sgpr_workgroup_id_z 0
		.amdhsa_system_sgpr_workgroup_info 0
		.amdhsa_system_vgpr_workitem_id 0
		.amdhsa_next_free_vgpr 4
		.amdhsa_next_free_sgpr 12
		.amdhsa_reserve_vcc 1
		.amdhsa_reserve_flat_scratch 0
		.amdhsa_float_round_mode_32 0
		.amdhsa_float_round_mode_16_64 0
		.amdhsa_float_denorm_mode_32 3
		.amdhsa_float_denorm_mode_16_64 3
		.amdhsa_dx10_clamp 1
		.amdhsa_ieee_mode 1
		.amdhsa_fp16_overflow 0
		.amdhsa_exception_fp_ieee_invalid_op 0
		.amdhsa_exception_fp_denorm_src 0
		.amdhsa_exception_fp_ieee_div_zero 0
		.amdhsa_exception_fp_ieee_overflow 0
		.amdhsa_exception_fp_ieee_underflow 0
		.amdhsa_exception_fp_ieee_inexact 0
		.amdhsa_exception_int_div_zero 0
	.end_amdhsa_kernel
	.section	.text._Z6kernelI14inclusive_scaniLj256ELj16ELj100EEvPKT0_PS1_S1_,"axG",@progbits,_Z6kernelI14inclusive_scaniLj256ELj16ELj100EEvPKT0_PS1_S1_,comdat
.Lfunc_end1:
	.size	_Z6kernelI14inclusive_scaniLj256ELj16ELj100EEvPKT0_PS1_S1_, .Lfunc_end1-_Z6kernelI14inclusive_scaniLj256ELj16ELj100EEvPKT0_PS1_S1_
                                        ; -- End function
	.set _Z6kernelI14inclusive_scaniLj256ELj16ELj100EEvPKT0_PS1_S1_.num_vgpr, 4
	.set _Z6kernelI14inclusive_scaniLj256ELj16ELj100EEvPKT0_PS1_S1_.num_agpr, 0
	.set _Z6kernelI14inclusive_scaniLj256ELj16ELj100EEvPKT0_PS1_S1_.numbered_sgpr, 12
	.set _Z6kernelI14inclusive_scaniLj256ELj16ELj100EEvPKT0_PS1_S1_.num_named_barrier, 0
	.set _Z6kernelI14inclusive_scaniLj256ELj16ELj100EEvPKT0_PS1_S1_.private_seg_size, 0
	.set _Z6kernelI14inclusive_scaniLj256ELj16ELj100EEvPKT0_PS1_S1_.uses_vcc, 1
	.set _Z6kernelI14inclusive_scaniLj256ELj16ELj100EEvPKT0_PS1_S1_.uses_flat_scratch, 0
	.set _Z6kernelI14inclusive_scaniLj256ELj16ELj100EEvPKT0_PS1_S1_.has_dyn_sized_stack, 0
	.set _Z6kernelI14inclusive_scaniLj256ELj16ELj100EEvPKT0_PS1_S1_.has_recursion, 0
	.set _Z6kernelI14inclusive_scaniLj256ELj16ELj100EEvPKT0_PS1_S1_.has_indirect_call, 0
	.section	.AMDGPU.csdata,"",@progbits
; Kernel info:
; codeLenInByte = 248
; TotalNumSgprs: 16
; NumVgprs: 4
; ScratchSize: 0
; MemoryBound: 0
; FloatMode: 240
; IeeeMode: 1
; LDSByteSize: 0 bytes/workgroup (compile time only)
; SGPRBlocks: 1
; VGPRBlocks: 0
; NumSGPRsForWavesPerEU: 16
; NumVGPRsForWavesPerEU: 4
; Occupancy: 10
; WaveLimiterHint : 0
; COMPUTE_PGM_RSRC2:SCRATCH_EN: 0
; COMPUTE_PGM_RSRC2:USER_SGPR: 6
; COMPUTE_PGM_RSRC2:TRAP_HANDLER: 0
; COMPUTE_PGM_RSRC2:TGID_X_EN: 1
; COMPUTE_PGM_RSRC2:TGID_Y_EN: 0
; COMPUTE_PGM_RSRC2:TGID_Z_EN: 0
; COMPUTE_PGM_RSRC2:TIDIG_COMP_CNT: 0
	.section	.text._Z6kernelI14inclusive_scaniLj62ELj31ELj100EEvPKT0_PS1_S1_,"axG",@progbits,_Z6kernelI14inclusive_scaniLj62ELj31ELj100EEvPKT0_PS1_S1_,comdat
	.protected	_Z6kernelI14inclusive_scaniLj62ELj31ELj100EEvPKT0_PS1_S1_ ; -- Begin function _Z6kernelI14inclusive_scaniLj62ELj31ELj100EEvPKT0_PS1_S1_
	.globl	_Z6kernelI14inclusive_scaniLj62ELj31ELj100EEvPKT0_PS1_S1_
	.p2align	8
	.type	_Z6kernelI14inclusive_scaniLj62ELj31ELj100EEvPKT0_PS1_S1_,@function
_Z6kernelI14inclusive_scaniLj62ELj31ELj100EEvPKT0_PS1_S1_: ; @_Z6kernelI14inclusive_scaniLj62ELj31ELj100EEvPKT0_PS1_S1_
; %bb.0:
	s_load_dword s0, s[4:5], 0x24
	s_load_dwordx4 s[8:11], s[4:5], 0x0
	v_mov_b32_e32 v1, 0
	s_movk_i32 s12, 0x64
	s_waitcnt lgkmcnt(0)
	s_and_b32 s0, s0, 0xffff
	s_mul_i32 s6, s6, s0
	v_add_u32_e32 v0, s6, v0
	v_lshlrev_b64 v[0:1], 2, v[0:1]
	v_mov_b32_e32 v3, s9
	v_add_co_u32_e32 v2, vcc, s8, v0
	v_addc_co_u32_e32 v3, vcc, v3, v1, vcc
	global_load_dword v2, v[2:3], off
	v_mbcnt_lo_u32_b32 v3, -1, 0
	v_mbcnt_hi_u32_b32 v3, -1, v3
	s_mov_b32 s0, 0x8421085
	v_mul_hi_u32 v4, v3, s0
	v_mul_u32_u24_e32 v4, 31, v4
	v_sub_u32_e32 v4, v3, v4
	v_lshlrev_b32_e32 v3, 2, v4
	v_cmp_ne_u32_e32 vcc, 0, v4
	v_cmp_lt_u32_e64 s[0:1], 1, v4
	v_cmp_lt_u32_e64 s[2:3], 3, v4
	;; [unrolled: 1-line block ×4, first 2 shown]
	v_add_u32_e32 v4, -4, v3
	v_add_u32_e32 v5, -8, v3
	;; [unrolled: 1-line block ×3, first 2 shown]
	v_subrev_u32_e32 v7, 32, v3
	v_subrev_u32_e32 v8, 64, v3
	s_branch .LBB2_2
.LBB2_1:                                ;   in Loop: Header=BB2_2 Depth=1
	s_or_b64 exec, exec, s[8:9]
	s_add_i32 s12, s12, -1
	s_cmp_lg_u32 s12, 0
	; wave barrier
	s_cbranch_scc0 .LBB2_22
.LBB2_2:                                ; =>This Inner Loop Header: Depth=1
	s_waitcnt vmcnt(0)
	ds_write_b32 v3, v2
	; wave barrier
	s_and_saveexec_b64 s[8:9], vcc
	s_cbranch_execz .LBB2_4
; %bb.3:                                ;   in Loop: Header=BB2_2 Depth=1
	ds_read_b32 v9, v4
	s_waitcnt lgkmcnt(0)
	v_add_u32_e32 v2, v9, v2
.LBB2_4:                                ;   in Loop: Header=BB2_2 Depth=1
	s_or_b64 exec, exec, s[8:9]
	; wave barrier
	s_and_saveexec_b64 s[8:9], vcc
; %bb.5:                                ;   in Loop: Header=BB2_2 Depth=1
	ds_write_b32 v3, v2
; %bb.6:                                ;   in Loop: Header=BB2_2 Depth=1
	s_or_b64 exec, exec, s[8:9]
	; wave barrier
	s_and_saveexec_b64 s[8:9], s[0:1]
	s_cbranch_execz .LBB2_8
; %bb.7:                                ;   in Loop: Header=BB2_2 Depth=1
	ds_read_b32 v9, v5
	s_waitcnt lgkmcnt(0)
	v_add_u32_e32 v2, v9, v2
.LBB2_8:                                ;   in Loop: Header=BB2_2 Depth=1
	s_or_b64 exec, exec, s[8:9]
	; wave barrier
	s_and_saveexec_b64 s[8:9], s[0:1]
; %bb.9:                                ;   in Loop: Header=BB2_2 Depth=1
	ds_write_b32 v3, v2
; %bb.10:                               ;   in Loop: Header=BB2_2 Depth=1
	s_or_b64 exec, exec, s[8:9]
	; wave barrier
	s_and_saveexec_b64 s[8:9], s[2:3]
	s_cbranch_execz .LBB2_12
; %bb.11:                               ;   in Loop: Header=BB2_2 Depth=1
	ds_read_b32 v9, v6
	s_waitcnt lgkmcnt(0)
	v_add_u32_e32 v2, v9, v2
.LBB2_12:                               ;   in Loop: Header=BB2_2 Depth=1
	s_or_b64 exec, exec, s[8:9]
	; wave barrier
	s_and_saveexec_b64 s[8:9], s[2:3]
; %bb.13:                               ;   in Loop: Header=BB2_2 Depth=1
	ds_write_b32 v3, v2
; %bb.14:                               ;   in Loop: Header=BB2_2 Depth=1
	s_or_b64 exec, exec, s[8:9]
	; wave barrier
	s_and_saveexec_b64 s[8:9], s[4:5]
	s_cbranch_execz .LBB2_16
; %bb.15:                               ;   in Loop: Header=BB2_2 Depth=1
	ds_read_b32 v9, v7
	s_waitcnt lgkmcnt(0)
	v_add_u32_e32 v2, v9, v2
.LBB2_16:                               ;   in Loop: Header=BB2_2 Depth=1
	s_or_b64 exec, exec, s[8:9]
	; wave barrier
	s_and_saveexec_b64 s[8:9], s[4:5]
; %bb.17:                               ;   in Loop: Header=BB2_2 Depth=1
	ds_write_b32 v3, v2
; %bb.18:                               ;   in Loop: Header=BB2_2 Depth=1
	s_or_b64 exec, exec, s[8:9]
	; wave barrier
	s_and_saveexec_b64 s[8:9], s[6:7]
	s_cbranch_execz .LBB2_20
; %bb.19:                               ;   in Loop: Header=BB2_2 Depth=1
	ds_read_b32 v9, v8
	s_waitcnt lgkmcnt(0)
	v_add_u32_e32 v2, v9, v2
.LBB2_20:                               ;   in Loop: Header=BB2_2 Depth=1
	s_or_b64 exec, exec, s[8:9]
	; wave barrier
	s_and_saveexec_b64 s[8:9], s[6:7]
	s_cbranch_execz .LBB2_1
; %bb.21:                               ;   in Loop: Header=BB2_2 Depth=1
	ds_write_b32 v3, v2
	s_branch .LBB2_1
.LBB2_22:
	v_mov_b32_e32 v3, s11
	v_add_co_u32_e32 v0, vcc, s10, v0
	v_addc_co_u32_e32 v1, vcc, v3, v1, vcc
	global_store_dword v[0:1], v2, off
	s_endpgm
	.section	.rodata,"a",@progbits
	.p2align	6, 0x0
	.amdhsa_kernel _Z6kernelI14inclusive_scaniLj62ELj31ELj100EEvPKT0_PS1_S1_
		.amdhsa_group_segment_fixed_size 124
		.amdhsa_private_segment_fixed_size 0
		.amdhsa_kernarg_size 280
		.amdhsa_user_sgpr_count 6
		.amdhsa_user_sgpr_private_segment_buffer 1
		.amdhsa_user_sgpr_dispatch_ptr 0
		.amdhsa_user_sgpr_queue_ptr 0
		.amdhsa_user_sgpr_kernarg_segment_ptr 1
		.amdhsa_user_sgpr_dispatch_id 0
		.amdhsa_user_sgpr_flat_scratch_init 0
		.amdhsa_user_sgpr_private_segment_size 0
		.amdhsa_uses_dynamic_stack 0
		.amdhsa_system_sgpr_private_segment_wavefront_offset 0
		.amdhsa_system_sgpr_workgroup_id_x 1
		.amdhsa_system_sgpr_workgroup_id_y 0
		.amdhsa_system_sgpr_workgroup_id_z 0
		.amdhsa_system_sgpr_workgroup_info 0
		.amdhsa_system_vgpr_workitem_id 0
		.amdhsa_next_free_vgpr 10
		.amdhsa_next_free_sgpr 13
		.amdhsa_reserve_vcc 1
		.amdhsa_reserve_flat_scratch 0
		.amdhsa_float_round_mode_32 0
		.amdhsa_float_round_mode_16_64 0
		.amdhsa_float_denorm_mode_32 3
		.amdhsa_float_denorm_mode_16_64 3
		.amdhsa_dx10_clamp 1
		.amdhsa_ieee_mode 1
		.amdhsa_fp16_overflow 0
		.amdhsa_exception_fp_ieee_invalid_op 0
		.amdhsa_exception_fp_denorm_src 0
		.amdhsa_exception_fp_ieee_div_zero 0
		.amdhsa_exception_fp_ieee_overflow 0
		.amdhsa_exception_fp_ieee_underflow 0
		.amdhsa_exception_fp_ieee_inexact 0
		.amdhsa_exception_int_div_zero 0
	.end_amdhsa_kernel
	.section	.text._Z6kernelI14inclusive_scaniLj62ELj31ELj100EEvPKT0_PS1_S1_,"axG",@progbits,_Z6kernelI14inclusive_scaniLj62ELj31ELj100EEvPKT0_PS1_S1_,comdat
.Lfunc_end2:
	.size	_Z6kernelI14inclusive_scaniLj62ELj31ELj100EEvPKT0_PS1_S1_, .Lfunc_end2-_Z6kernelI14inclusive_scaniLj62ELj31ELj100EEvPKT0_PS1_S1_
                                        ; -- End function
	.set _Z6kernelI14inclusive_scaniLj62ELj31ELj100EEvPKT0_PS1_S1_.num_vgpr, 10
	.set _Z6kernelI14inclusive_scaniLj62ELj31ELj100EEvPKT0_PS1_S1_.num_agpr, 0
	.set _Z6kernelI14inclusive_scaniLj62ELj31ELj100EEvPKT0_PS1_S1_.numbered_sgpr, 13
	.set _Z6kernelI14inclusive_scaniLj62ELj31ELj100EEvPKT0_PS1_S1_.num_named_barrier, 0
	.set _Z6kernelI14inclusive_scaniLj62ELj31ELj100EEvPKT0_PS1_S1_.private_seg_size, 0
	.set _Z6kernelI14inclusive_scaniLj62ELj31ELj100EEvPKT0_PS1_S1_.uses_vcc, 1
	.set _Z6kernelI14inclusive_scaniLj62ELj31ELj100EEvPKT0_PS1_S1_.uses_flat_scratch, 0
	.set _Z6kernelI14inclusive_scaniLj62ELj31ELj100EEvPKT0_PS1_S1_.has_dyn_sized_stack, 0
	.set _Z6kernelI14inclusive_scaniLj62ELj31ELj100EEvPKT0_PS1_S1_.has_recursion, 0
	.set _Z6kernelI14inclusive_scaniLj62ELj31ELj100EEvPKT0_PS1_S1_.has_indirect_call, 0
	.section	.AMDGPU.csdata,"",@progbits
; Kernel info:
; codeLenInByte = 452
; TotalNumSgprs: 17
; NumVgprs: 10
; ScratchSize: 0
; MemoryBound: 0
; FloatMode: 240
; IeeeMode: 1
; LDSByteSize: 124 bytes/workgroup (compile time only)
; SGPRBlocks: 2
; VGPRBlocks: 2
; NumSGPRsForWavesPerEU: 17
; NumVGPRsForWavesPerEU: 10
; Occupancy: 10
; WaveLimiterHint : 0
; COMPUTE_PGM_RSRC2:SCRATCH_EN: 0
; COMPUTE_PGM_RSRC2:USER_SGPR: 6
; COMPUTE_PGM_RSRC2:TRAP_HANDLER: 0
; COMPUTE_PGM_RSRC2:TGID_X_EN: 1
; COMPUTE_PGM_RSRC2:TGID_Y_EN: 0
; COMPUTE_PGM_RSRC2:TGID_Z_EN: 0
; COMPUTE_PGM_RSRC2:TIDIG_COMP_CNT: 0
	.section	.text._Z6kernelI14inclusive_scaniLj256ELj32ELj100EEvPKT0_PS1_S1_,"axG",@progbits,_Z6kernelI14inclusive_scaniLj256ELj32ELj100EEvPKT0_PS1_S1_,comdat
	.protected	_Z6kernelI14inclusive_scaniLj256ELj32ELj100EEvPKT0_PS1_S1_ ; -- Begin function _Z6kernelI14inclusive_scaniLj256ELj32ELj100EEvPKT0_PS1_S1_
	.globl	_Z6kernelI14inclusive_scaniLj256ELj32ELj100EEvPKT0_PS1_S1_
	.p2align	8
	.type	_Z6kernelI14inclusive_scaniLj256ELj32ELj100EEvPKT0_PS1_S1_,@function
_Z6kernelI14inclusive_scaniLj256ELj32ELj100EEvPKT0_PS1_S1_: ; @_Z6kernelI14inclusive_scaniLj256ELj32ELj100EEvPKT0_PS1_S1_
; %bb.0:
	s_load_dword s0, s[4:5], 0x24
	s_load_dwordx4 s[8:11], s[4:5], 0x0
	v_mov_b32_e32 v1, 0
	s_waitcnt lgkmcnt(0)
	s_and_b32 s0, s0, 0xffff
	s_mul_i32 s6, s6, s0
	v_add_u32_e32 v0, s6, v0
	v_lshlrev_b64 v[0:1], 2, v[0:1]
	v_mov_b32_e32 v3, s9
	v_add_co_u32_e32 v2, vcc, s8, v0
	v_addc_co_u32_e32 v3, vcc, v3, v1, vcc
	global_load_dword v2, v[2:3], off
	v_mbcnt_lo_u32_b32 v3, -1, 0
	v_mbcnt_hi_u32_b32 v3, -1, v3
	v_and_b32_e32 v4, 15, v3
	v_and_b32_e32 v3, 16, v3
	v_cmp_eq_u32_e32 vcc, 0, v4
	v_cmp_lt_u32_e64 s[0:1], 1, v4
	v_cmp_lt_u32_e64 s[2:3], 3, v4
	;; [unrolled: 1-line block ×3, first 2 shown]
	v_cmp_eq_u32_e64 s[6:7], 0, v3
	s_movk_i32 s8, 0x64
.LBB3_1:                                ; =>This Inner Loop Header: Depth=1
	s_waitcnt vmcnt(0)
	v_mov_b32_dpp v3, v2 row_shr:1 row_mask:0xf bank_mask:0xf
	v_cndmask_b32_e64 v3, v3, 0, vcc
	v_add_u32_e32 v2, v3, v2
	s_add_i32 s8, s8, -1
	s_cmp_lg_u32 s8, 0
	v_mov_b32_dpp v3, v2 row_shr:2 row_mask:0xf bank_mask:0xf
	v_cndmask_b32_e64 v3, 0, v3, s[0:1]
	v_add_u32_e32 v2, v2, v3
	s_nop 1
	v_mov_b32_dpp v3, v2 row_shr:4 row_mask:0xf bank_mask:0xf
	v_cndmask_b32_e64 v3, 0, v3, s[2:3]
	v_add_u32_e32 v2, v2, v3
	s_nop 1
	;; [unrolled: 4-line block ×3, first 2 shown]
	v_mov_b32_dpp v3, v2 row_bcast:15 row_mask:0xf bank_mask:0xf
	v_cndmask_b32_e64 v3, v3, 0, s[6:7]
	v_add_u32_e32 v2, v2, v3
	s_cbranch_scc1 .LBB3_1
; %bb.2:
	v_mov_b32_e32 v3, s11
	v_add_co_u32_e32 v0, vcc, s10, v0
	v_addc_co_u32_e32 v1, vcc, v3, v1, vcc
	global_store_dword v[0:1], v2, off
	s_endpgm
	.section	.rodata,"a",@progbits
	.p2align	6, 0x0
	.amdhsa_kernel _Z6kernelI14inclusive_scaniLj256ELj32ELj100EEvPKT0_PS1_S1_
		.amdhsa_group_segment_fixed_size 0
		.amdhsa_private_segment_fixed_size 0
		.amdhsa_kernarg_size 280
		.amdhsa_user_sgpr_count 6
		.amdhsa_user_sgpr_private_segment_buffer 1
		.amdhsa_user_sgpr_dispatch_ptr 0
		.amdhsa_user_sgpr_queue_ptr 0
		.amdhsa_user_sgpr_kernarg_segment_ptr 1
		.amdhsa_user_sgpr_dispatch_id 0
		.amdhsa_user_sgpr_flat_scratch_init 0
		.amdhsa_user_sgpr_private_segment_size 0
		.amdhsa_uses_dynamic_stack 0
		.amdhsa_system_sgpr_private_segment_wavefront_offset 0
		.amdhsa_system_sgpr_workgroup_id_x 1
		.amdhsa_system_sgpr_workgroup_id_y 0
		.amdhsa_system_sgpr_workgroup_id_z 0
		.amdhsa_system_sgpr_workgroup_info 0
		.amdhsa_system_vgpr_workitem_id 0
		.amdhsa_next_free_vgpr 5
		.amdhsa_next_free_sgpr 12
		.amdhsa_reserve_vcc 1
		.amdhsa_reserve_flat_scratch 0
		.amdhsa_float_round_mode_32 0
		.amdhsa_float_round_mode_16_64 0
		.amdhsa_float_denorm_mode_32 3
		.amdhsa_float_denorm_mode_16_64 3
		.amdhsa_dx10_clamp 1
		.amdhsa_ieee_mode 1
		.amdhsa_fp16_overflow 0
		.amdhsa_exception_fp_ieee_invalid_op 0
		.amdhsa_exception_fp_denorm_src 0
		.amdhsa_exception_fp_ieee_div_zero 0
		.amdhsa_exception_fp_ieee_overflow 0
		.amdhsa_exception_fp_ieee_underflow 0
		.amdhsa_exception_fp_ieee_inexact 0
		.amdhsa_exception_int_div_zero 0
	.end_amdhsa_kernel
	.section	.text._Z6kernelI14inclusive_scaniLj256ELj32ELj100EEvPKT0_PS1_S1_,"axG",@progbits,_Z6kernelI14inclusive_scaniLj256ELj32ELj100EEvPKT0_PS1_S1_,comdat
.Lfunc_end3:
	.size	_Z6kernelI14inclusive_scaniLj256ELj32ELj100EEvPKT0_PS1_S1_, .Lfunc_end3-_Z6kernelI14inclusive_scaniLj256ELj32ELj100EEvPKT0_PS1_S1_
                                        ; -- End function
	.set _Z6kernelI14inclusive_scaniLj256ELj32ELj100EEvPKT0_PS1_S1_.num_vgpr, 5
	.set _Z6kernelI14inclusive_scaniLj256ELj32ELj100EEvPKT0_PS1_S1_.num_agpr, 0
	.set _Z6kernelI14inclusive_scaniLj256ELj32ELj100EEvPKT0_PS1_S1_.numbered_sgpr, 12
	.set _Z6kernelI14inclusive_scaniLj256ELj32ELj100EEvPKT0_PS1_S1_.num_named_barrier, 0
	.set _Z6kernelI14inclusive_scaniLj256ELj32ELj100EEvPKT0_PS1_S1_.private_seg_size, 0
	.set _Z6kernelI14inclusive_scaniLj256ELj32ELj100EEvPKT0_PS1_S1_.uses_vcc, 1
	.set _Z6kernelI14inclusive_scaniLj256ELj32ELj100EEvPKT0_PS1_S1_.uses_flat_scratch, 0
	.set _Z6kernelI14inclusive_scaniLj256ELj32ELj100EEvPKT0_PS1_S1_.has_dyn_sized_stack, 0
	.set _Z6kernelI14inclusive_scaniLj256ELj32ELj100EEvPKT0_PS1_S1_.has_recursion, 0
	.set _Z6kernelI14inclusive_scaniLj256ELj32ELj100EEvPKT0_PS1_S1_.has_indirect_call, 0
	.section	.AMDGPU.csdata,"",@progbits
; Kernel info:
; codeLenInByte = 284
; TotalNumSgprs: 16
; NumVgprs: 5
; ScratchSize: 0
; MemoryBound: 0
; FloatMode: 240
; IeeeMode: 1
; LDSByteSize: 0 bytes/workgroup (compile time only)
; SGPRBlocks: 1
; VGPRBlocks: 1
; NumSGPRsForWavesPerEU: 16
; NumVGPRsForWavesPerEU: 5
; Occupancy: 10
; WaveLimiterHint : 0
; COMPUTE_PGM_RSRC2:SCRATCH_EN: 0
; COMPUTE_PGM_RSRC2:USER_SGPR: 6
; COMPUTE_PGM_RSRC2:TRAP_HANDLER: 0
; COMPUTE_PGM_RSRC2:TGID_X_EN: 1
; COMPUTE_PGM_RSRC2:TGID_Y_EN: 0
; COMPUTE_PGM_RSRC2:TGID_Z_EN: 0
; COMPUTE_PGM_RSRC2:TIDIG_COMP_CNT: 0
	.section	.text._Z6kernelI14inclusive_scaniLj63ELj63ELj100EEvPKT0_PS1_S1_,"axG",@progbits,_Z6kernelI14inclusive_scaniLj63ELj63ELj100EEvPKT0_PS1_S1_,comdat
	.protected	_Z6kernelI14inclusive_scaniLj63ELj63ELj100EEvPKT0_PS1_S1_ ; -- Begin function _Z6kernelI14inclusive_scaniLj63ELj63ELj100EEvPKT0_PS1_S1_
	.globl	_Z6kernelI14inclusive_scaniLj63ELj63ELj100EEvPKT0_PS1_S1_
	.p2align	8
	.type	_Z6kernelI14inclusive_scaniLj63ELj63ELj100EEvPKT0_PS1_S1_,@function
_Z6kernelI14inclusive_scaniLj63ELj63ELj100EEvPKT0_PS1_S1_: ; @_Z6kernelI14inclusive_scaniLj63ELj63ELj100EEvPKT0_PS1_S1_
; %bb.0:
	s_load_dword s0, s[4:5], 0x24
	s_load_dwordx4 s[8:11], s[4:5], 0x0
	v_mov_b32_e32 v1, 0
	s_movk_i32 s14, 0x64
	s_waitcnt lgkmcnt(0)
	s_and_b32 s0, s0, 0xffff
	s_mul_i32 s6, s6, s0
	v_add_u32_e32 v0, s6, v0
	v_lshlrev_b64 v[0:1], 2, v[0:1]
	v_mov_b32_e32 v3, s9
	v_add_co_u32_e32 v2, vcc, s8, v0
	v_addc_co_u32_e32 v3, vcc, v3, v1, vcc
	global_load_dword v2, v[2:3], off
	v_mbcnt_lo_u32_b32 v3, -1, 0
	v_mbcnt_hi_u32_b32 v3, -1, v3
	s_mov_b32 s0, 0x4104105
	v_mul_hi_u32 v4, v3, s0
	v_mul_u32_u24_e32 v4, 63, v4
	v_sub_u32_e32 v4, v3, v4
	v_lshlrev_b32_e32 v3, 2, v4
	v_cmp_ne_u32_e32 vcc, 0, v4
	v_cmp_lt_u32_e64 s[0:1], 1, v4
	v_cmp_lt_u32_e64 s[2:3], 3, v4
	;; [unrolled: 1-line block ×5, first 2 shown]
	v_add_u32_e32 v4, -4, v3
	v_add_u32_e32 v5, -8, v3
	;; [unrolled: 1-line block ×3, first 2 shown]
	v_subrev_u32_e32 v7, 32, v3
	v_subrev_u32_e32 v8, 64, v3
	v_add_u32_e32 v9, 0xffffff80, v3
	s_branch .LBB4_2
.LBB4_1:                                ;   in Loop: Header=BB4_2 Depth=1
	s_or_b64 exec, exec, s[12:13]
	s_add_i32 s14, s14, -1
	s_cmp_lg_u32 s14, 0
	; wave barrier
	s_cbranch_scc0 .LBB4_26
.LBB4_2:                                ; =>This Inner Loop Header: Depth=1
	s_waitcnt vmcnt(0)
	ds_write_b32 v3, v2
	; wave barrier
	s_and_saveexec_b64 s[12:13], vcc
	s_cbranch_execz .LBB4_4
; %bb.3:                                ;   in Loop: Header=BB4_2 Depth=1
	ds_read_b32 v10, v4
	s_waitcnt lgkmcnt(0)
	v_add_u32_e32 v2, v10, v2
.LBB4_4:                                ;   in Loop: Header=BB4_2 Depth=1
	s_or_b64 exec, exec, s[12:13]
	; wave barrier
	s_and_saveexec_b64 s[12:13], vcc
; %bb.5:                                ;   in Loop: Header=BB4_2 Depth=1
	ds_write_b32 v3, v2
; %bb.6:                                ;   in Loop: Header=BB4_2 Depth=1
	s_or_b64 exec, exec, s[12:13]
	; wave barrier
	s_and_saveexec_b64 s[12:13], s[0:1]
	s_cbranch_execz .LBB4_8
; %bb.7:                                ;   in Loop: Header=BB4_2 Depth=1
	ds_read_b32 v10, v5
	s_waitcnt lgkmcnt(0)
	v_add_u32_e32 v2, v10, v2
.LBB4_8:                                ;   in Loop: Header=BB4_2 Depth=1
	s_or_b64 exec, exec, s[12:13]
	; wave barrier
	s_and_saveexec_b64 s[12:13], s[0:1]
; %bb.9:                                ;   in Loop: Header=BB4_2 Depth=1
	ds_write_b32 v3, v2
; %bb.10:                               ;   in Loop: Header=BB4_2 Depth=1
	s_or_b64 exec, exec, s[12:13]
	; wave barrier
	s_and_saveexec_b64 s[12:13], s[2:3]
	s_cbranch_execz .LBB4_12
; %bb.11:                               ;   in Loop: Header=BB4_2 Depth=1
	ds_read_b32 v10, v6
	s_waitcnt lgkmcnt(0)
	v_add_u32_e32 v2, v10, v2
.LBB4_12:                               ;   in Loop: Header=BB4_2 Depth=1
	s_or_b64 exec, exec, s[12:13]
	; wave barrier
	s_and_saveexec_b64 s[12:13], s[2:3]
; %bb.13:                               ;   in Loop: Header=BB4_2 Depth=1
	ds_write_b32 v3, v2
; %bb.14:                               ;   in Loop: Header=BB4_2 Depth=1
	s_or_b64 exec, exec, s[12:13]
	; wave barrier
	s_and_saveexec_b64 s[12:13], s[4:5]
	s_cbranch_execz .LBB4_16
; %bb.15:                               ;   in Loop: Header=BB4_2 Depth=1
	ds_read_b32 v10, v7
	s_waitcnt lgkmcnt(0)
	v_add_u32_e32 v2, v10, v2
.LBB4_16:                               ;   in Loop: Header=BB4_2 Depth=1
	s_or_b64 exec, exec, s[12:13]
	; wave barrier
	s_and_saveexec_b64 s[12:13], s[4:5]
; %bb.17:                               ;   in Loop: Header=BB4_2 Depth=1
	;; [unrolled: 15-line block ×3, first 2 shown]
	ds_write_b32 v3, v2
; %bb.22:                               ;   in Loop: Header=BB4_2 Depth=1
	s_or_b64 exec, exec, s[12:13]
	; wave barrier
	s_and_saveexec_b64 s[12:13], s[8:9]
	s_cbranch_execz .LBB4_24
; %bb.23:                               ;   in Loop: Header=BB4_2 Depth=1
	ds_read_b32 v10, v9
	s_waitcnt lgkmcnt(0)
	v_add_u32_e32 v2, v10, v2
.LBB4_24:                               ;   in Loop: Header=BB4_2 Depth=1
	s_or_b64 exec, exec, s[12:13]
	; wave barrier
	s_and_saveexec_b64 s[12:13], s[8:9]
	s_cbranch_execz .LBB4_1
; %bb.25:                               ;   in Loop: Header=BB4_2 Depth=1
	ds_write_b32 v3, v2
	s_branch .LBB4_1
.LBB4_26:
	v_mov_b32_e32 v3, s11
	v_add_co_u32_e32 v0, vcc, s10, v0
	v_addc_co_u32_e32 v1, vcc, v3, v1, vcc
	global_store_dword v[0:1], v2, off
	s_endpgm
	.section	.rodata,"a",@progbits
	.p2align	6, 0x0
	.amdhsa_kernel _Z6kernelI14inclusive_scaniLj63ELj63ELj100EEvPKT0_PS1_S1_
		.amdhsa_group_segment_fixed_size 252
		.amdhsa_private_segment_fixed_size 0
		.amdhsa_kernarg_size 280
		.amdhsa_user_sgpr_count 6
		.amdhsa_user_sgpr_private_segment_buffer 1
		.amdhsa_user_sgpr_dispatch_ptr 0
		.amdhsa_user_sgpr_queue_ptr 0
		.amdhsa_user_sgpr_kernarg_segment_ptr 1
		.amdhsa_user_sgpr_dispatch_id 0
		.amdhsa_user_sgpr_flat_scratch_init 0
		.amdhsa_user_sgpr_private_segment_size 0
		.amdhsa_uses_dynamic_stack 0
		.amdhsa_system_sgpr_private_segment_wavefront_offset 0
		.amdhsa_system_sgpr_workgroup_id_x 1
		.amdhsa_system_sgpr_workgroup_id_y 0
		.amdhsa_system_sgpr_workgroup_id_z 0
		.amdhsa_system_sgpr_workgroup_info 0
		.amdhsa_system_vgpr_workitem_id 0
		.amdhsa_next_free_vgpr 11
		.amdhsa_next_free_sgpr 15
		.amdhsa_reserve_vcc 1
		.amdhsa_reserve_flat_scratch 0
		.amdhsa_float_round_mode_32 0
		.amdhsa_float_round_mode_16_64 0
		.amdhsa_float_denorm_mode_32 3
		.amdhsa_float_denorm_mode_16_64 3
		.amdhsa_dx10_clamp 1
		.amdhsa_ieee_mode 1
		.amdhsa_fp16_overflow 0
		.amdhsa_exception_fp_ieee_invalid_op 0
		.amdhsa_exception_fp_denorm_src 0
		.amdhsa_exception_fp_ieee_div_zero 0
		.amdhsa_exception_fp_ieee_overflow 0
		.amdhsa_exception_fp_ieee_underflow 0
		.amdhsa_exception_fp_ieee_inexact 0
		.amdhsa_exception_int_div_zero 0
	.end_amdhsa_kernel
	.section	.text._Z6kernelI14inclusive_scaniLj63ELj63ELj100EEvPKT0_PS1_S1_,"axG",@progbits,_Z6kernelI14inclusive_scaniLj63ELj63ELj100EEvPKT0_PS1_S1_,comdat
.Lfunc_end4:
	.size	_Z6kernelI14inclusive_scaniLj63ELj63ELj100EEvPKT0_PS1_S1_, .Lfunc_end4-_Z6kernelI14inclusive_scaniLj63ELj63ELj100EEvPKT0_PS1_S1_
                                        ; -- End function
	.set _Z6kernelI14inclusive_scaniLj63ELj63ELj100EEvPKT0_PS1_S1_.num_vgpr, 11
	.set _Z6kernelI14inclusive_scaniLj63ELj63ELj100EEvPKT0_PS1_S1_.num_agpr, 0
	.set _Z6kernelI14inclusive_scaniLj63ELj63ELj100EEvPKT0_PS1_S1_.numbered_sgpr, 15
	.set _Z6kernelI14inclusive_scaniLj63ELj63ELj100EEvPKT0_PS1_S1_.num_named_barrier, 0
	.set _Z6kernelI14inclusive_scaniLj63ELj63ELj100EEvPKT0_PS1_S1_.private_seg_size, 0
	.set _Z6kernelI14inclusive_scaniLj63ELj63ELj100EEvPKT0_PS1_S1_.uses_vcc, 1
	.set _Z6kernelI14inclusive_scaniLj63ELj63ELj100EEvPKT0_PS1_S1_.uses_flat_scratch, 0
	.set _Z6kernelI14inclusive_scaniLj63ELj63ELj100EEvPKT0_PS1_S1_.has_dyn_sized_stack, 0
	.set _Z6kernelI14inclusive_scaniLj63ELj63ELj100EEvPKT0_PS1_S1_.has_recursion, 0
	.set _Z6kernelI14inclusive_scaniLj63ELj63ELj100EEvPKT0_PS1_S1_.has_indirect_call, 0
	.section	.AMDGPU.csdata,"",@progbits
; Kernel info:
; codeLenInByte = 512
; TotalNumSgprs: 19
; NumVgprs: 11
; ScratchSize: 0
; MemoryBound: 0
; FloatMode: 240
; IeeeMode: 1
; LDSByteSize: 252 bytes/workgroup (compile time only)
; SGPRBlocks: 2
; VGPRBlocks: 2
; NumSGPRsForWavesPerEU: 19
; NumVGPRsForWavesPerEU: 11
; Occupancy: 10
; WaveLimiterHint : 0
; COMPUTE_PGM_RSRC2:SCRATCH_EN: 0
; COMPUTE_PGM_RSRC2:USER_SGPR: 6
; COMPUTE_PGM_RSRC2:TRAP_HANDLER: 0
; COMPUTE_PGM_RSRC2:TGID_X_EN: 1
; COMPUTE_PGM_RSRC2:TGID_Y_EN: 0
; COMPUTE_PGM_RSRC2:TGID_Z_EN: 0
; COMPUTE_PGM_RSRC2:TIDIG_COMP_CNT: 0
	.section	.text._Z6kernelI14inclusive_scaniLj64ELj64ELj100EEvPKT0_PS1_S1_,"axG",@progbits,_Z6kernelI14inclusive_scaniLj64ELj64ELj100EEvPKT0_PS1_S1_,comdat
	.protected	_Z6kernelI14inclusive_scaniLj64ELj64ELj100EEvPKT0_PS1_S1_ ; -- Begin function _Z6kernelI14inclusive_scaniLj64ELj64ELj100EEvPKT0_PS1_S1_
	.globl	_Z6kernelI14inclusive_scaniLj64ELj64ELj100EEvPKT0_PS1_S1_
	.p2align	8
	.type	_Z6kernelI14inclusive_scaniLj64ELj64ELj100EEvPKT0_PS1_S1_,@function
_Z6kernelI14inclusive_scaniLj64ELj64ELj100EEvPKT0_PS1_S1_: ; @_Z6kernelI14inclusive_scaniLj64ELj64ELj100EEvPKT0_PS1_S1_
; %bb.0:
	s_load_dword s0, s[4:5], 0x24
	s_load_dwordx4 s[8:11], s[4:5], 0x0
	v_mov_b32_e32 v1, 0
	s_movk_i32 s12, 0x64
	s_waitcnt lgkmcnt(0)
	s_and_b32 s0, s0, 0xffff
	s_mul_i32 s6, s6, s0
	v_add_u32_e32 v0, s6, v0
	v_lshlrev_b64 v[0:1], 2, v[0:1]
	v_mov_b32_e32 v3, s9
	v_add_co_u32_e32 v2, vcc, s8, v0
	v_addc_co_u32_e32 v3, vcc, v3, v1, vcc
	global_load_dword v2, v[2:3], off
	v_mbcnt_lo_u32_b32 v3, -1, 0
	v_mbcnt_hi_u32_b32 v3, -1, v3
	v_and_b32_e32 v4, 15, v3
	v_cmp_eq_u32_e32 vcc, 0, v4
	v_cmp_lt_u32_e64 s[0:1], 1, v4
	v_cmp_lt_u32_e64 s[2:3], 3, v4
	;; [unrolled: 1-line block ×3, first 2 shown]
	v_and_b32_e32 v4, 16, v3
	v_cmp_eq_u32_e64 s[6:7], 0, v4
	v_cmp_lt_u32_e64 s[8:9], 31, v3
.LBB5_1:                                ; =>This Inner Loop Header: Depth=1
	s_waitcnt vmcnt(0)
	v_mov_b32_dpp v3, v2 row_shr:1 row_mask:0xf bank_mask:0xf
	v_cndmask_b32_e64 v3, v3, 0, vcc
	v_add_u32_e32 v2, v3, v2
	s_add_i32 s12, s12, -1
	s_cmp_lg_u32 s12, 0
	v_mov_b32_dpp v3, v2 row_shr:2 row_mask:0xf bank_mask:0xf
	v_cndmask_b32_e64 v3, 0, v3, s[0:1]
	v_add_u32_e32 v2, v2, v3
	s_nop 1
	v_mov_b32_dpp v3, v2 row_shr:4 row_mask:0xf bank_mask:0xf
	v_cndmask_b32_e64 v3, 0, v3, s[2:3]
	v_add_u32_e32 v2, v2, v3
	s_nop 1
	;; [unrolled: 4-line block ×3, first 2 shown]
	v_mov_b32_dpp v3, v2 row_bcast:15 row_mask:0xf bank_mask:0xf
	v_cndmask_b32_e64 v3, v3, 0, s[6:7]
	v_add_u32_e32 v2, v2, v3
	s_nop 1
	v_mov_b32_dpp v3, v2 row_bcast:31 row_mask:0xf bank_mask:0xf
	v_cndmask_b32_e64 v3, 0, v3, s[8:9]
	v_add_u32_e32 v2, v2, v3
	s_cbranch_scc1 .LBB5_1
; %bb.2:
	v_mov_b32_e32 v3, s11
	v_add_co_u32_e32 v0, vcc, s10, v0
	v_addc_co_u32_e32 v1, vcc, v3, v1, vcc
	global_store_dword v[0:1], v2, off
	s_endpgm
	.section	.rodata,"a",@progbits
	.p2align	6, 0x0
	.amdhsa_kernel _Z6kernelI14inclusive_scaniLj64ELj64ELj100EEvPKT0_PS1_S1_
		.amdhsa_group_segment_fixed_size 0
		.amdhsa_private_segment_fixed_size 0
		.amdhsa_kernarg_size 280
		.amdhsa_user_sgpr_count 6
		.amdhsa_user_sgpr_private_segment_buffer 1
		.amdhsa_user_sgpr_dispatch_ptr 0
		.amdhsa_user_sgpr_queue_ptr 0
		.amdhsa_user_sgpr_kernarg_segment_ptr 1
		.amdhsa_user_sgpr_dispatch_id 0
		.amdhsa_user_sgpr_flat_scratch_init 0
		.amdhsa_user_sgpr_private_segment_size 0
		.amdhsa_uses_dynamic_stack 0
		.amdhsa_system_sgpr_private_segment_wavefront_offset 0
		.amdhsa_system_sgpr_workgroup_id_x 1
		.amdhsa_system_sgpr_workgroup_id_y 0
		.amdhsa_system_sgpr_workgroup_id_z 0
		.amdhsa_system_sgpr_workgroup_info 0
		.amdhsa_system_vgpr_workitem_id 0
		.amdhsa_next_free_vgpr 5
		.amdhsa_next_free_sgpr 13
		.amdhsa_reserve_vcc 1
		.amdhsa_reserve_flat_scratch 0
		.amdhsa_float_round_mode_32 0
		.amdhsa_float_round_mode_16_64 0
		.amdhsa_float_denorm_mode_32 3
		.amdhsa_float_denorm_mode_16_64 3
		.amdhsa_dx10_clamp 1
		.amdhsa_ieee_mode 1
		.amdhsa_fp16_overflow 0
		.amdhsa_exception_fp_ieee_invalid_op 0
		.amdhsa_exception_fp_denorm_src 0
		.amdhsa_exception_fp_ieee_div_zero 0
		.amdhsa_exception_fp_ieee_overflow 0
		.amdhsa_exception_fp_ieee_underflow 0
		.amdhsa_exception_fp_ieee_inexact 0
		.amdhsa_exception_int_div_zero 0
	.end_amdhsa_kernel
	.section	.text._Z6kernelI14inclusive_scaniLj64ELj64ELj100EEvPKT0_PS1_S1_,"axG",@progbits,_Z6kernelI14inclusive_scaniLj64ELj64ELj100EEvPKT0_PS1_S1_,comdat
.Lfunc_end5:
	.size	_Z6kernelI14inclusive_scaniLj64ELj64ELj100EEvPKT0_PS1_S1_, .Lfunc_end5-_Z6kernelI14inclusive_scaniLj64ELj64ELj100EEvPKT0_PS1_S1_
                                        ; -- End function
	.set _Z6kernelI14inclusive_scaniLj64ELj64ELj100EEvPKT0_PS1_S1_.num_vgpr, 5
	.set _Z6kernelI14inclusive_scaniLj64ELj64ELj100EEvPKT0_PS1_S1_.num_agpr, 0
	.set _Z6kernelI14inclusive_scaniLj64ELj64ELj100EEvPKT0_PS1_S1_.numbered_sgpr, 13
	.set _Z6kernelI14inclusive_scaniLj64ELj64ELj100EEvPKT0_PS1_S1_.num_named_barrier, 0
	.set _Z6kernelI14inclusive_scaniLj64ELj64ELj100EEvPKT0_PS1_S1_.private_seg_size, 0
	.set _Z6kernelI14inclusive_scaniLj64ELj64ELj100EEvPKT0_PS1_S1_.uses_vcc, 1
	.set _Z6kernelI14inclusive_scaniLj64ELj64ELj100EEvPKT0_PS1_S1_.uses_flat_scratch, 0
	.set _Z6kernelI14inclusive_scaniLj64ELj64ELj100EEvPKT0_PS1_S1_.has_dyn_sized_stack, 0
	.set _Z6kernelI14inclusive_scaniLj64ELj64ELj100EEvPKT0_PS1_S1_.has_recursion, 0
	.set _Z6kernelI14inclusive_scaniLj64ELj64ELj100EEvPKT0_PS1_S1_.has_indirect_call, 0
	.section	.AMDGPU.csdata,"",@progbits
; Kernel info:
; codeLenInByte = 316
; TotalNumSgprs: 17
; NumVgprs: 5
; ScratchSize: 0
; MemoryBound: 0
; FloatMode: 240
; IeeeMode: 1
; LDSByteSize: 0 bytes/workgroup (compile time only)
; SGPRBlocks: 2
; VGPRBlocks: 1
; NumSGPRsForWavesPerEU: 17
; NumVGPRsForWavesPerEU: 5
; Occupancy: 10
; WaveLimiterHint : 0
; COMPUTE_PGM_RSRC2:SCRATCH_EN: 0
; COMPUTE_PGM_RSRC2:USER_SGPR: 6
; COMPUTE_PGM_RSRC2:TRAP_HANDLER: 0
; COMPUTE_PGM_RSRC2:TGID_X_EN: 1
; COMPUTE_PGM_RSRC2:TGID_Y_EN: 0
; COMPUTE_PGM_RSRC2:TGID_Z_EN: 0
; COMPUTE_PGM_RSRC2:TIDIG_COMP_CNT: 0
	.section	.text._Z6kernelI14inclusive_scaniLj128ELj64ELj100EEvPKT0_PS1_S1_,"axG",@progbits,_Z6kernelI14inclusive_scaniLj128ELj64ELj100EEvPKT0_PS1_S1_,comdat
	.protected	_Z6kernelI14inclusive_scaniLj128ELj64ELj100EEvPKT0_PS1_S1_ ; -- Begin function _Z6kernelI14inclusive_scaniLj128ELj64ELj100EEvPKT0_PS1_S1_
	.globl	_Z6kernelI14inclusive_scaniLj128ELj64ELj100EEvPKT0_PS1_S1_
	.p2align	8
	.type	_Z6kernelI14inclusive_scaniLj128ELj64ELj100EEvPKT0_PS1_S1_,@function
_Z6kernelI14inclusive_scaniLj128ELj64ELj100EEvPKT0_PS1_S1_: ; @_Z6kernelI14inclusive_scaniLj128ELj64ELj100EEvPKT0_PS1_S1_
; %bb.0:
	s_load_dword s0, s[4:5], 0x24
	s_load_dwordx4 s[8:11], s[4:5], 0x0
	v_mov_b32_e32 v1, 0
	s_movk_i32 s12, 0x64
	s_waitcnt lgkmcnt(0)
	s_and_b32 s0, s0, 0xffff
	s_mul_i32 s6, s6, s0
	v_add_u32_e32 v0, s6, v0
	v_lshlrev_b64 v[0:1], 2, v[0:1]
	v_mov_b32_e32 v3, s9
	v_add_co_u32_e32 v2, vcc, s8, v0
	v_addc_co_u32_e32 v3, vcc, v3, v1, vcc
	global_load_dword v2, v[2:3], off
	v_mbcnt_lo_u32_b32 v3, -1, 0
	v_mbcnt_hi_u32_b32 v3, -1, v3
	v_and_b32_e32 v4, 15, v3
	v_cmp_eq_u32_e32 vcc, 0, v4
	v_cmp_lt_u32_e64 s[0:1], 1, v4
	v_cmp_lt_u32_e64 s[2:3], 3, v4
	;; [unrolled: 1-line block ×3, first 2 shown]
	v_and_b32_e32 v4, 16, v3
	v_cmp_eq_u32_e64 s[6:7], 0, v4
	v_cmp_lt_u32_e64 s[8:9], 31, v3
.LBB6_1:                                ; =>This Inner Loop Header: Depth=1
	s_waitcnt vmcnt(0)
	v_mov_b32_dpp v3, v2 row_shr:1 row_mask:0xf bank_mask:0xf
	v_cndmask_b32_e64 v3, v3, 0, vcc
	v_add_u32_e32 v2, v3, v2
	s_add_i32 s12, s12, -1
	s_cmp_lg_u32 s12, 0
	v_mov_b32_dpp v3, v2 row_shr:2 row_mask:0xf bank_mask:0xf
	v_cndmask_b32_e64 v3, 0, v3, s[0:1]
	v_add_u32_e32 v2, v2, v3
	s_nop 1
	v_mov_b32_dpp v3, v2 row_shr:4 row_mask:0xf bank_mask:0xf
	v_cndmask_b32_e64 v3, 0, v3, s[2:3]
	v_add_u32_e32 v2, v2, v3
	s_nop 1
	;; [unrolled: 4-line block ×3, first 2 shown]
	v_mov_b32_dpp v3, v2 row_bcast:15 row_mask:0xf bank_mask:0xf
	v_cndmask_b32_e64 v3, v3, 0, s[6:7]
	v_add_u32_e32 v2, v2, v3
	s_nop 1
	v_mov_b32_dpp v3, v2 row_bcast:31 row_mask:0xf bank_mask:0xf
	v_cndmask_b32_e64 v3, 0, v3, s[8:9]
	v_add_u32_e32 v2, v2, v3
	s_cbranch_scc1 .LBB6_1
; %bb.2:
	v_mov_b32_e32 v3, s11
	v_add_co_u32_e32 v0, vcc, s10, v0
	v_addc_co_u32_e32 v1, vcc, v3, v1, vcc
	global_store_dword v[0:1], v2, off
	s_endpgm
	.section	.rodata,"a",@progbits
	.p2align	6, 0x0
	.amdhsa_kernel _Z6kernelI14inclusive_scaniLj128ELj64ELj100EEvPKT0_PS1_S1_
		.amdhsa_group_segment_fixed_size 0
		.amdhsa_private_segment_fixed_size 0
		.amdhsa_kernarg_size 280
		.amdhsa_user_sgpr_count 6
		.amdhsa_user_sgpr_private_segment_buffer 1
		.amdhsa_user_sgpr_dispatch_ptr 0
		.amdhsa_user_sgpr_queue_ptr 0
		.amdhsa_user_sgpr_kernarg_segment_ptr 1
		.amdhsa_user_sgpr_dispatch_id 0
		.amdhsa_user_sgpr_flat_scratch_init 0
		.amdhsa_user_sgpr_private_segment_size 0
		.amdhsa_uses_dynamic_stack 0
		.amdhsa_system_sgpr_private_segment_wavefront_offset 0
		.amdhsa_system_sgpr_workgroup_id_x 1
		.amdhsa_system_sgpr_workgroup_id_y 0
		.amdhsa_system_sgpr_workgroup_id_z 0
		.amdhsa_system_sgpr_workgroup_info 0
		.amdhsa_system_vgpr_workitem_id 0
		.amdhsa_next_free_vgpr 5
		.amdhsa_next_free_sgpr 13
		.amdhsa_reserve_vcc 1
		.amdhsa_reserve_flat_scratch 0
		.amdhsa_float_round_mode_32 0
		.amdhsa_float_round_mode_16_64 0
		.amdhsa_float_denorm_mode_32 3
		.amdhsa_float_denorm_mode_16_64 3
		.amdhsa_dx10_clamp 1
		.amdhsa_ieee_mode 1
		.amdhsa_fp16_overflow 0
		.amdhsa_exception_fp_ieee_invalid_op 0
		.amdhsa_exception_fp_denorm_src 0
		.amdhsa_exception_fp_ieee_div_zero 0
		.amdhsa_exception_fp_ieee_overflow 0
		.amdhsa_exception_fp_ieee_underflow 0
		.amdhsa_exception_fp_ieee_inexact 0
		.amdhsa_exception_int_div_zero 0
	.end_amdhsa_kernel
	.section	.text._Z6kernelI14inclusive_scaniLj128ELj64ELj100EEvPKT0_PS1_S1_,"axG",@progbits,_Z6kernelI14inclusive_scaniLj128ELj64ELj100EEvPKT0_PS1_S1_,comdat
.Lfunc_end6:
	.size	_Z6kernelI14inclusive_scaniLj128ELj64ELj100EEvPKT0_PS1_S1_, .Lfunc_end6-_Z6kernelI14inclusive_scaniLj128ELj64ELj100EEvPKT0_PS1_S1_
                                        ; -- End function
	.set _Z6kernelI14inclusive_scaniLj128ELj64ELj100EEvPKT0_PS1_S1_.num_vgpr, 5
	.set _Z6kernelI14inclusive_scaniLj128ELj64ELj100EEvPKT0_PS1_S1_.num_agpr, 0
	.set _Z6kernelI14inclusive_scaniLj128ELj64ELj100EEvPKT0_PS1_S1_.numbered_sgpr, 13
	.set _Z6kernelI14inclusive_scaniLj128ELj64ELj100EEvPKT0_PS1_S1_.num_named_barrier, 0
	.set _Z6kernelI14inclusive_scaniLj128ELj64ELj100EEvPKT0_PS1_S1_.private_seg_size, 0
	.set _Z6kernelI14inclusive_scaniLj128ELj64ELj100EEvPKT0_PS1_S1_.uses_vcc, 1
	.set _Z6kernelI14inclusive_scaniLj128ELj64ELj100EEvPKT0_PS1_S1_.uses_flat_scratch, 0
	.set _Z6kernelI14inclusive_scaniLj128ELj64ELj100EEvPKT0_PS1_S1_.has_dyn_sized_stack, 0
	.set _Z6kernelI14inclusive_scaniLj128ELj64ELj100EEvPKT0_PS1_S1_.has_recursion, 0
	.set _Z6kernelI14inclusive_scaniLj128ELj64ELj100EEvPKT0_PS1_S1_.has_indirect_call, 0
	.section	.AMDGPU.csdata,"",@progbits
; Kernel info:
; codeLenInByte = 316
; TotalNumSgprs: 17
; NumVgprs: 5
; ScratchSize: 0
; MemoryBound: 0
; FloatMode: 240
; IeeeMode: 1
; LDSByteSize: 0 bytes/workgroup (compile time only)
; SGPRBlocks: 2
; VGPRBlocks: 1
; NumSGPRsForWavesPerEU: 17
; NumVGPRsForWavesPerEU: 5
; Occupancy: 10
; WaveLimiterHint : 0
; COMPUTE_PGM_RSRC2:SCRATCH_EN: 0
; COMPUTE_PGM_RSRC2:USER_SGPR: 6
; COMPUTE_PGM_RSRC2:TRAP_HANDLER: 0
; COMPUTE_PGM_RSRC2:TGID_X_EN: 1
; COMPUTE_PGM_RSRC2:TGID_Y_EN: 0
; COMPUTE_PGM_RSRC2:TGID_Z_EN: 0
; COMPUTE_PGM_RSRC2:TIDIG_COMP_CNT: 0
	.section	.text._Z6kernelI14inclusive_scaniLj256ELj64ELj100EEvPKT0_PS1_S1_,"axG",@progbits,_Z6kernelI14inclusive_scaniLj256ELj64ELj100EEvPKT0_PS1_S1_,comdat
	.protected	_Z6kernelI14inclusive_scaniLj256ELj64ELj100EEvPKT0_PS1_S1_ ; -- Begin function _Z6kernelI14inclusive_scaniLj256ELj64ELj100EEvPKT0_PS1_S1_
	.globl	_Z6kernelI14inclusive_scaniLj256ELj64ELj100EEvPKT0_PS1_S1_
	.p2align	8
	.type	_Z6kernelI14inclusive_scaniLj256ELj64ELj100EEvPKT0_PS1_S1_,@function
_Z6kernelI14inclusive_scaniLj256ELj64ELj100EEvPKT0_PS1_S1_: ; @_Z6kernelI14inclusive_scaniLj256ELj64ELj100EEvPKT0_PS1_S1_
; %bb.0:
	s_load_dword s0, s[4:5], 0x24
	s_load_dwordx4 s[8:11], s[4:5], 0x0
	v_mov_b32_e32 v1, 0
	s_movk_i32 s12, 0x64
	s_waitcnt lgkmcnt(0)
	s_and_b32 s0, s0, 0xffff
	s_mul_i32 s6, s6, s0
	v_add_u32_e32 v0, s6, v0
	v_lshlrev_b64 v[0:1], 2, v[0:1]
	v_mov_b32_e32 v3, s9
	v_add_co_u32_e32 v2, vcc, s8, v0
	v_addc_co_u32_e32 v3, vcc, v3, v1, vcc
	global_load_dword v2, v[2:3], off
	v_mbcnt_lo_u32_b32 v3, -1, 0
	v_mbcnt_hi_u32_b32 v3, -1, v3
	v_and_b32_e32 v4, 15, v3
	v_cmp_eq_u32_e32 vcc, 0, v4
	v_cmp_lt_u32_e64 s[0:1], 1, v4
	v_cmp_lt_u32_e64 s[2:3], 3, v4
	;; [unrolled: 1-line block ×3, first 2 shown]
	v_and_b32_e32 v4, 16, v3
	v_cmp_eq_u32_e64 s[6:7], 0, v4
	v_cmp_lt_u32_e64 s[8:9], 31, v3
.LBB7_1:                                ; =>This Inner Loop Header: Depth=1
	s_waitcnt vmcnt(0)
	v_mov_b32_dpp v3, v2 row_shr:1 row_mask:0xf bank_mask:0xf
	v_cndmask_b32_e64 v3, v3, 0, vcc
	v_add_u32_e32 v2, v3, v2
	s_add_i32 s12, s12, -1
	s_cmp_lg_u32 s12, 0
	v_mov_b32_dpp v3, v2 row_shr:2 row_mask:0xf bank_mask:0xf
	v_cndmask_b32_e64 v3, 0, v3, s[0:1]
	v_add_u32_e32 v2, v2, v3
	s_nop 1
	v_mov_b32_dpp v3, v2 row_shr:4 row_mask:0xf bank_mask:0xf
	v_cndmask_b32_e64 v3, 0, v3, s[2:3]
	v_add_u32_e32 v2, v2, v3
	s_nop 1
	;; [unrolled: 4-line block ×3, first 2 shown]
	v_mov_b32_dpp v3, v2 row_bcast:15 row_mask:0xf bank_mask:0xf
	v_cndmask_b32_e64 v3, v3, 0, s[6:7]
	v_add_u32_e32 v2, v2, v3
	s_nop 1
	v_mov_b32_dpp v3, v2 row_bcast:31 row_mask:0xf bank_mask:0xf
	v_cndmask_b32_e64 v3, 0, v3, s[8:9]
	v_add_u32_e32 v2, v2, v3
	s_cbranch_scc1 .LBB7_1
; %bb.2:
	v_mov_b32_e32 v3, s11
	v_add_co_u32_e32 v0, vcc, s10, v0
	v_addc_co_u32_e32 v1, vcc, v3, v1, vcc
	global_store_dword v[0:1], v2, off
	s_endpgm
	.section	.rodata,"a",@progbits
	.p2align	6, 0x0
	.amdhsa_kernel _Z6kernelI14inclusive_scaniLj256ELj64ELj100EEvPKT0_PS1_S1_
		.amdhsa_group_segment_fixed_size 0
		.amdhsa_private_segment_fixed_size 0
		.amdhsa_kernarg_size 280
		.amdhsa_user_sgpr_count 6
		.amdhsa_user_sgpr_private_segment_buffer 1
		.amdhsa_user_sgpr_dispatch_ptr 0
		.amdhsa_user_sgpr_queue_ptr 0
		.amdhsa_user_sgpr_kernarg_segment_ptr 1
		.amdhsa_user_sgpr_dispatch_id 0
		.amdhsa_user_sgpr_flat_scratch_init 0
		.amdhsa_user_sgpr_private_segment_size 0
		.amdhsa_uses_dynamic_stack 0
		.amdhsa_system_sgpr_private_segment_wavefront_offset 0
		.amdhsa_system_sgpr_workgroup_id_x 1
		.amdhsa_system_sgpr_workgroup_id_y 0
		.amdhsa_system_sgpr_workgroup_id_z 0
		.amdhsa_system_sgpr_workgroup_info 0
		.amdhsa_system_vgpr_workitem_id 0
		.amdhsa_next_free_vgpr 5
		.amdhsa_next_free_sgpr 13
		.amdhsa_reserve_vcc 1
		.amdhsa_reserve_flat_scratch 0
		.amdhsa_float_round_mode_32 0
		.amdhsa_float_round_mode_16_64 0
		.amdhsa_float_denorm_mode_32 3
		.amdhsa_float_denorm_mode_16_64 3
		.amdhsa_dx10_clamp 1
		.amdhsa_ieee_mode 1
		.amdhsa_fp16_overflow 0
		.amdhsa_exception_fp_ieee_invalid_op 0
		.amdhsa_exception_fp_denorm_src 0
		.amdhsa_exception_fp_ieee_div_zero 0
		.amdhsa_exception_fp_ieee_overflow 0
		.amdhsa_exception_fp_ieee_underflow 0
		.amdhsa_exception_fp_ieee_inexact 0
		.amdhsa_exception_int_div_zero 0
	.end_amdhsa_kernel
	.section	.text._Z6kernelI14inclusive_scaniLj256ELj64ELj100EEvPKT0_PS1_S1_,"axG",@progbits,_Z6kernelI14inclusive_scaniLj256ELj64ELj100EEvPKT0_PS1_S1_,comdat
.Lfunc_end7:
	.size	_Z6kernelI14inclusive_scaniLj256ELj64ELj100EEvPKT0_PS1_S1_, .Lfunc_end7-_Z6kernelI14inclusive_scaniLj256ELj64ELj100EEvPKT0_PS1_S1_
                                        ; -- End function
	.set _Z6kernelI14inclusive_scaniLj256ELj64ELj100EEvPKT0_PS1_S1_.num_vgpr, 5
	.set _Z6kernelI14inclusive_scaniLj256ELj64ELj100EEvPKT0_PS1_S1_.num_agpr, 0
	.set _Z6kernelI14inclusive_scaniLj256ELj64ELj100EEvPKT0_PS1_S1_.numbered_sgpr, 13
	.set _Z6kernelI14inclusive_scaniLj256ELj64ELj100EEvPKT0_PS1_S1_.num_named_barrier, 0
	.set _Z6kernelI14inclusive_scaniLj256ELj64ELj100EEvPKT0_PS1_S1_.private_seg_size, 0
	.set _Z6kernelI14inclusive_scaniLj256ELj64ELj100EEvPKT0_PS1_S1_.uses_vcc, 1
	.set _Z6kernelI14inclusive_scaniLj256ELj64ELj100EEvPKT0_PS1_S1_.uses_flat_scratch, 0
	.set _Z6kernelI14inclusive_scaniLj256ELj64ELj100EEvPKT0_PS1_S1_.has_dyn_sized_stack, 0
	.set _Z6kernelI14inclusive_scaniLj256ELj64ELj100EEvPKT0_PS1_S1_.has_recursion, 0
	.set _Z6kernelI14inclusive_scaniLj256ELj64ELj100EEvPKT0_PS1_S1_.has_indirect_call, 0
	.section	.AMDGPU.csdata,"",@progbits
; Kernel info:
; codeLenInByte = 316
; TotalNumSgprs: 17
; NumVgprs: 5
; ScratchSize: 0
; MemoryBound: 0
; FloatMode: 240
; IeeeMode: 1
; LDSByteSize: 0 bytes/workgroup (compile time only)
; SGPRBlocks: 2
; VGPRBlocks: 1
; NumSGPRsForWavesPerEU: 17
; NumVGPRsForWavesPerEU: 5
; Occupancy: 10
; WaveLimiterHint : 0
; COMPUTE_PGM_RSRC2:SCRATCH_EN: 0
; COMPUTE_PGM_RSRC2:USER_SGPR: 6
; COMPUTE_PGM_RSRC2:TRAP_HANDLER: 0
; COMPUTE_PGM_RSRC2:TGID_X_EN: 1
; COMPUTE_PGM_RSRC2:TGID_Y_EN: 0
; COMPUTE_PGM_RSRC2:TGID_Z_EN: 0
; COMPUTE_PGM_RSRC2:TIDIG_COMP_CNT: 0
	.section	.text._Z6kernelI14inclusive_scanfLj60ELj15ELj100EEvPKT0_PS1_S1_,"axG",@progbits,_Z6kernelI14inclusive_scanfLj60ELj15ELj100EEvPKT0_PS1_S1_,comdat
	.protected	_Z6kernelI14inclusive_scanfLj60ELj15ELj100EEvPKT0_PS1_S1_ ; -- Begin function _Z6kernelI14inclusive_scanfLj60ELj15ELj100EEvPKT0_PS1_S1_
	.globl	_Z6kernelI14inclusive_scanfLj60ELj15ELj100EEvPKT0_PS1_S1_
	.p2align	8
	.type	_Z6kernelI14inclusive_scanfLj60ELj15ELj100EEvPKT0_PS1_S1_,@function
_Z6kernelI14inclusive_scanfLj60ELj15ELj100EEvPKT0_PS1_S1_: ; @_Z6kernelI14inclusive_scanfLj60ELj15ELj100EEvPKT0_PS1_S1_
; %bb.0:
	s_load_dword s0, s[4:5], 0x24
	s_load_dwordx4 s[8:11], s[4:5], 0x0
	v_mov_b32_e32 v1, 0
	s_waitcnt lgkmcnt(0)
	s_and_b32 s0, s0, 0xffff
	s_mul_i32 s6, s6, s0
	v_add_u32_e32 v0, s6, v0
	v_lshlrev_b64 v[0:1], 2, v[0:1]
	v_mov_b32_e32 v3, s9
	v_add_co_u32_e32 v2, vcc, s8, v0
	v_addc_co_u32_e32 v3, vcc, v3, v1, vcc
	global_load_dword v2, v[2:3], off
	v_mbcnt_lo_u32_b32 v3, -1, 0
	v_mbcnt_hi_u32_b32 v3, -1, v3
	s_mov_b32 s0, 0x11111112
	v_mul_hi_u32 v4, v3, s0
	s_movk_i32 s8, 0x64
	v_mul_u32_u24_e32 v4, 15, v4
	v_sub_u32_e32 v4, v3, v4
	v_lshlrev_b32_e32 v3, 2, v4
	v_cmp_ne_u32_e32 vcc, 0, v4
	v_cmp_lt_u32_e64 s[0:1], 1, v4
	v_cmp_lt_u32_e64 s[2:3], 3, v4
	;; [unrolled: 1-line block ×3, first 2 shown]
	v_add_u32_e32 v4, -4, v3
	v_add_u32_e32 v5, -8, v3
	;; [unrolled: 1-line block ×3, first 2 shown]
	v_subrev_u32_e32 v7, 32, v3
	s_branch .LBB8_2
.LBB8_1:                                ;   in Loop: Header=BB8_2 Depth=1
	s_or_b64 exec, exec, s[6:7]
	s_add_i32 s8, s8, -1
	s_cmp_lg_u32 s8, 0
	; wave barrier
	s_cbranch_scc0 .LBB8_18
.LBB8_2:                                ; =>This Inner Loop Header: Depth=1
	s_waitcnt vmcnt(0)
	ds_write_b32 v3, v2
	; wave barrier
	s_and_saveexec_b64 s[6:7], vcc
	s_cbranch_execz .LBB8_4
; %bb.3:                                ;   in Loop: Header=BB8_2 Depth=1
	ds_read_b32 v8, v4
	s_waitcnt lgkmcnt(0)
	v_add_f32_e32 v2, v2, v8
.LBB8_4:                                ;   in Loop: Header=BB8_2 Depth=1
	s_or_b64 exec, exec, s[6:7]
	; wave barrier
	s_and_saveexec_b64 s[6:7], vcc
; %bb.5:                                ;   in Loop: Header=BB8_2 Depth=1
	ds_write_b32 v3, v2
; %bb.6:                                ;   in Loop: Header=BB8_2 Depth=1
	s_or_b64 exec, exec, s[6:7]
	; wave barrier
	s_and_saveexec_b64 s[6:7], s[0:1]
	s_cbranch_execz .LBB8_8
; %bb.7:                                ;   in Loop: Header=BB8_2 Depth=1
	ds_read_b32 v8, v5
	s_waitcnt lgkmcnt(0)
	v_add_f32_e32 v2, v2, v8
.LBB8_8:                                ;   in Loop: Header=BB8_2 Depth=1
	s_or_b64 exec, exec, s[6:7]
	; wave barrier
	s_and_saveexec_b64 s[6:7], s[0:1]
; %bb.9:                                ;   in Loop: Header=BB8_2 Depth=1
	ds_write_b32 v3, v2
; %bb.10:                               ;   in Loop: Header=BB8_2 Depth=1
	s_or_b64 exec, exec, s[6:7]
	; wave barrier
	s_and_saveexec_b64 s[6:7], s[2:3]
	s_cbranch_execz .LBB8_12
; %bb.11:                               ;   in Loop: Header=BB8_2 Depth=1
	ds_read_b32 v8, v6
	s_waitcnt lgkmcnt(0)
	v_add_f32_e32 v2, v2, v8
.LBB8_12:                               ;   in Loop: Header=BB8_2 Depth=1
	s_or_b64 exec, exec, s[6:7]
	; wave barrier
	s_and_saveexec_b64 s[6:7], s[2:3]
; %bb.13:                               ;   in Loop: Header=BB8_2 Depth=1
	ds_write_b32 v3, v2
; %bb.14:                               ;   in Loop: Header=BB8_2 Depth=1
	s_or_b64 exec, exec, s[6:7]
	; wave barrier
	s_and_saveexec_b64 s[6:7], s[4:5]
	s_cbranch_execz .LBB8_16
; %bb.15:                               ;   in Loop: Header=BB8_2 Depth=1
	ds_read_b32 v8, v7
	s_waitcnt lgkmcnt(0)
	v_add_f32_e32 v2, v2, v8
.LBB8_16:                               ;   in Loop: Header=BB8_2 Depth=1
	s_or_b64 exec, exec, s[6:7]
	; wave barrier
	s_and_saveexec_b64 s[6:7], s[4:5]
	s_cbranch_execz .LBB8_1
; %bb.17:                               ;   in Loop: Header=BB8_2 Depth=1
	ds_write_b32 v3, v2
	s_branch .LBB8_1
.LBB8_18:
	v_mov_b32_e32 v3, s11
	v_add_co_u32_e32 v0, vcc, s10, v0
	v_addc_co_u32_e32 v1, vcc, v3, v1, vcc
	global_store_dword v[0:1], v2, off
	s_endpgm
	.section	.rodata,"a",@progbits
	.p2align	6, 0x0
	.amdhsa_kernel _Z6kernelI14inclusive_scanfLj60ELj15ELj100EEvPKT0_PS1_S1_
		.amdhsa_group_segment_fixed_size 60
		.amdhsa_private_segment_fixed_size 0
		.amdhsa_kernarg_size 280
		.amdhsa_user_sgpr_count 6
		.amdhsa_user_sgpr_private_segment_buffer 1
		.amdhsa_user_sgpr_dispatch_ptr 0
		.amdhsa_user_sgpr_queue_ptr 0
		.amdhsa_user_sgpr_kernarg_segment_ptr 1
		.amdhsa_user_sgpr_dispatch_id 0
		.amdhsa_user_sgpr_flat_scratch_init 0
		.amdhsa_user_sgpr_private_segment_size 0
		.amdhsa_uses_dynamic_stack 0
		.amdhsa_system_sgpr_private_segment_wavefront_offset 0
		.amdhsa_system_sgpr_workgroup_id_x 1
		.amdhsa_system_sgpr_workgroup_id_y 0
		.amdhsa_system_sgpr_workgroup_id_z 0
		.amdhsa_system_sgpr_workgroup_info 0
		.amdhsa_system_vgpr_workitem_id 0
		.amdhsa_next_free_vgpr 9
		.amdhsa_next_free_sgpr 12
		.amdhsa_reserve_vcc 1
		.amdhsa_reserve_flat_scratch 0
		.amdhsa_float_round_mode_32 0
		.amdhsa_float_round_mode_16_64 0
		.amdhsa_float_denorm_mode_32 3
		.amdhsa_float_denorm_mode_16_64 3
		.amdhsa_dx10_clamp 1
		.amdhsa_ieee_mode 1
		.amdhsa_fp16_overflow 0
		.amdhsa_exception_fp_ieee_invalid_op 0
		.amdhsa_exception_fp_denorm_src 0
		.amdhsa_exception_fp_ieee_div_zero 0
		.amdhsa_exception_fp_ieee_overflow 0
		.amdhsa_exception_fp_ieee_underflow 0
		.amdhsa_exception_fp_ieee_inexact 0
		.amdhsa_exception_int_div_zero 0
	.end_amdhsa_kernel
	.section	.text._Z6kernelI14inclusive_scanfLj60ELj15ELj100EEvPKT0_PS1_S1_,"axG",@progbits,_Z6kernelI14inclusive_scanfLj60ELj15ELj100EEvPKT0_PS1_S1_,comdat
.Lfunc_end8:
	.size	_Z6kernelI14inclusive_scanfLj60ELj15ELj100EEvPKT0_PS1_S1_, .Lfunc_end8-_Z6kernelI14inclusive_scanfLj60ELj15ELj100EEvPKT0_PS1_S1_
                                        ; -- End function
	.set _Z6kernelI14inclusive_scanfLj60ELj15ELj100EEvPKT0_PS1_S1_.num_vgpr, 9
	.set _Z6kernelI14inclusive_scanfLj60ELj15ELj100EEvPKT0_PS1_S1_.num_agpr, 0
	.set _Z6kernelI14inclusive_scanfLj60ELj15ELj100EEvPKT0_PS1_S1_.numbered_sgpr, 12
	.set _Z6kernelI14inclusive_scanfLj60ELj15ELj100EEvPKT0_PS1_S1_.num_named_barrier, 0
	.set _Z6kernelI14inclusive_scanfLj60ELj15ELj100EEvPKT0_PS1_S1_.private_seg_size, 0
	.set _Z6kernelI14inclusive_scanfLj60ELj15ELj100EEvPKT0_PS1_S1_.uses_vcc, 1
	.set _Z6kernelI14inclusive_scanfLj60ELj15ELj100EEvPKT0_PS1_S1_.uses_flat_scratch, 0
	.set _Z6kernelI14inclusive_scanfLj60ELj15ELj100EEvPKT0_PS1_S1_.has_dyn_sized_stack, 0
	.set _Z6kernelI14inclusive_scanfLj60ELj15ELj100EEvPKT0_PS1_S1_.has_recursion, 0
	.set _Z6kernelI14inclusive_scanfLj60ELj15ELj100EEvPKT0_PS1_S1_.has_indirect_call, 0
	.section	.AMDGPU.csdata,"",@progbits
; Kernel info:
; codeLenInByte = 396
; TotalNumSgprs: 16
; NumVgprs: 9
; ScratchSize: 0
; MemoryBound: 0
; FloatMode: 240
; IeeeMode: 1
; LDSByteSize: 60 bytes/workgroup (compile time only)
; SGPRBlocks: 1
; VGPRBlocks: 2
; NumSGPRsForWavesPerEU: 16
; NumVGPRsForWavesPerEU: 9
; Occupancy: 10
; WaveLimiterHint : 0
; COMPUTE_PGM_RSRC2:SCRATCH_EN: 0
; COMPUTE_PGM_RSRC2:USER_SGPR: 6
; COMPUTE_PGM_RSRC2:TRAP_HANDLER: 0
; COMPUTE_PGM_RSRC2:TGID_X_EN: 1
; COMPUTE_PGM_RSRC2:TGID_Y_EN: 0
; COMPUTE_PGM_RSRC2:TGID_Z_EN: 0
; COMPUTE_PGM_RSRC2:TIDIG_COMP_CNT: 0
	.section	.text._Z6kernelI14inclusive_scanfLj256ELj16ELj100EEvPKT0_PS1_S1_,"axG",@progbits,_Z6kernelI14inclusive_scanfLj256ELj16ELj100EEvPKT0_PS1_S1_,comdat
	.protected	_Z6kernelI14inclusive_scanfLj256ELj16ELj100EEvPKT0_PS1_S1_ ; -- Begin function _Z6kernelI14inclusive_scanfLj256ELj16ELj100EEvPKT0_PS1_S1_
	.globl	_Z6kernelI14inclusive_scanfLj256ELj16ELj100EEvPKT0_PS1_S1_
	.p2align	8
	.type	_Z6kernelI14inclusive_scanfLj256ELj16ELj100EEvPKT0_PS1_S1_,@function
_Z6kernelI14inclusive_scanfLj256ELj16ELj100EEvPKT0_PS1_S1_: ; @_Z6kernelI14inclusive_scanfLj256ELj16ELj100EEvPKT0_PS1_S1_
; %bb.0:
	s_load_dword s0, s[4:5], 0x24
	s_load_dwordx4 s[8:11], s[4:5], 0x0
	v_mov_b32_e32 v1, 0
	s_waitcnt lgkmcnt(0)
	s_and_b32 s0, s0, 0xffff
	s_mul_i32 s6, s6, s0
	v_add_u32_e32 v0, s6, v0
	v_lshlrev_b64 v[0:1], 2, v[0:1]
	v_mov_b32_e32 v3, s9
	v_add_co_u32_e32 v2, vcc, s8, v0
	v_addc_co_u32_e32 v3, vcc, v3, v1, vcc
	global_load_dword v2, v[2:3], off
	v_mbcnt_lo_u32_b32 v3, -1, 0
	v_mbcnt_hi_u32_b32 v3, -1, v3
	v_and_b32_e32 v3, 15, v3
	v_cmp_eq_u32_e32 vcc, 0, v3
	v_cmp_lt_u32_e64 s[0:1], 1, v3
	v_cmp_lt_u32_e64 s[2:3], 3, v3
	v_cmp_lt_u32_e64 s[4:5], 7, v3
	s_movk_i32 s6, 0x64
.LBB9_1:                                ; =>This Inner Loop Header: Depth=1
	s_waitcnt vmcnt(0)
	v_mov_b32_dpp v3, v2 row_shr:1 row_mask:0xf bank_mask:0xf
	v_add_f32_e32 v3, v2, v3
	v_cndmask_b32_e32 v2, v3, v2, vcc
	s_add_i32 s6, s6, -1
	s_cmp_lg_u32 s6, 0
	v_mov_b32_dpp v3, v2 row_shr:2 row_mask:0xf bank_mask:0xf
	v_add_f32_e32 v3, v2, v3
	v_cndmask_b32_e64 v2, v2, v3, s[0:1]
	s_nop 1
	v_mov_b32_dpp v3, v2 row_shr:4 row_mask:0xf bank_mask:0xf
	v_add_f32_e32 v3, v2, v3
	v_cndmask_b32_e64 v2, v2, v3, s[2:3]
	s_nop 1
	v_mov_b32_dpp v3, v2 row_shr:8 row_mask:0xf bank_mask:0xf
	v_add_f32_e32 v3, v2, v3
	v_cndmask_b32_e64 v2, v2, v3, s[4:5]
	s_cbranch_scc1 .LBB9_1
; %bb.2:
	v_mov_b32_e32 v3, s11
	v_add_co_u32_e32 v0, vcc, s10, v0
	v_addc_co_u32_e32 v1, vcc, v3, v1, vcc
	global_store_dword v[0:1], v2, off
	s_endpgm
	.section	.rodata,"a",@progbits
	.p2align	6, 0x0
	.amdhsa_kernel _Z6kernelI14inclusive_scanfLj256ELj16ELj100EEvPKT0_PS1_S1_
		.amdhsa_group_segment_fixed_size 0
		.amdhsa_private_segment_fixed_size 0
		.amdhsa_kernarg_size 280
		.amdhsa_user_sgpr_count 6
		.amdhsa_user_sgpr_private_segment_buffer 1
		.amdhsa_user_sgpr_dispatch_ptr 0
		.amdhsa_user_sgpr_queue_ptr 0
		.amdhsa_user_sgpr_kernarg_segment_ptr 1
		.amdhsa_user_sgpr_dispatch_id 0
		.amdhsa_user_sgpr_flat_scratch_init 0
		.amdhsa_user_sgpr_private_segment_size 0
		.amdhsa_uses_dynamic_stack 0
		.amdhsa_system_sgpr_private_segment_wavefront_offset 0
		.amdhsa_system_sgpr_workgroup_id_x 1
		.amdhsa_system_sgpr_workgroup_id_y 0
		.amdhsa_system_sgpr_workgroup_id_z 0
		.amdhsa_system_sgpr_workgroup_info 0
		.amdhsa_system_vgpr_workitem_id 0
		.amdhsa_next_free_vgpr 4
		.amdhsa_next_free_sgpr 12
		.amdhsa_reserve_vcc 1
		.amdhsa_reserve_flat_scratch 0
		.amdhsa_float_round_mode_32 0
		.amdhsa_float_round_mode_16_64 0
		.amdhsa_float_denorm_mode_32 3
		.amdhsa_float_denorm_mode_16_64 3
		.amdhsa_dx10_clamp 1
		.amdhsa_ieee_mode 1
		.amdhsa_fp16_overflow 0
		.amdhsa_exception_fp_ieee_invalid_op 0
		.amdhsa_exception_fp_denorm_src 0
		.amdhsa_exception_fp_ieee_div_zero 0
		.amdhsa_exception_fp_ieee_overflow 0
		.amdhsa_exception_fp_ieee_underflow 0
		.amdhsa_exception_fp_ieee_inexact 0
		.amdhsa_exception_int_div_zero 0
	.end_amdhsa_kernel
	.section	.text._Z6kernelI14inclusive_scanfLj256ELj16ELj100EEvPKT0_PS1_S1_,"axG",@progbits,_Z6kernelI14inclusive_scanfLj256ELj16ELj100EEvPKT0_PS1_S1_,comdat
.Lfunc_end9:
	.size	_Z6kernelI14inclusive_scanfLj256ELj16ELj100EEvPKT0_PS1_S1_, .Lfunc_end9-_Z6kernelI14inclusive_scanfLj256ELj16ELj100EEvPKT0_PS1_S1_
                                        ; -- End function
	.set _Z6kernelI14inclusive_scanfLj256ELj16ELj100EEvPKT0_PS1_S1_.num_vgpr, 4
	.set _Z6kernelI14inclusive_scanfLj256ELj16ELj100EEvPKT0_PS1_S1_.num_agpr, 0
	.set _Z6kernelI14inclusive_scanfLj256ELj16ELj100EEvPKT0_PS1_S1_.numbered_sgpr, 12
	.set _Z6kernelI14inclusive_scanfLj256ELj16ELj100EEvPKT0_PS1_S1_.num_named_barrier, 0
	.set _Z6kernelI14inclusive_scanfLj256ELj16ELj100EEvPKT0_PS1_S1_.private_seg_size, 0
	.set _Z6kernelI14inclusive_scanfLj256ELj16ELj100EEvPKT0_PS1_S1_.uses_vcc, 1
	.set _Z6kernelI14inclusive_scanfLj256ELj16ELj100EEvPKT0_PS1_S1_.uses_flat_scratch, 0
	.set _Z6kernelI14inclusive_scanfLj256ELj16ELj100EEvPKT0_PS1_S1_.has_dyn_sized_stack, 0
	.set _Z6kernelI14inclusive_scanfLj256ELj16ELj100EEvPKT0_PS1_S1_.has_recursion, 0
	.set _Z6kernelI14inclusive_scanfLj256ELj16ELj100EEvPKT0_PS1_S1_.has_indirect_call, 0
	.section	.AMDGPU.csdata,"",@progbits
; Kernel info:
; codeLenInByte = 244
; TotalNumSgprs: 16
; NumVgprs: 4
; ScratchSize: 0
; MemoryBound: 0
; FloatMode: 240
; IeeeMode: 1
; LDSByteSize: 0 bytes/workgroup (compile time only)
; SGPRBlocks: 1
; VGPRBlocks: 0
; NumSGPRsForWavesPerEU: 16
; NumVGPRsForWavesPerEU: 4
; Occupancy: 10
; WaveLimiterHint : 0
; COMPUTE_PGM_RSRC2:SCRATCH_EN: 0
; COMPUTE_PGM_RSRC2:USER_SGPR: 6
; COMPUTE_PGM_RSRC2:TRAP_HANDLER: 0
; COMPUTE_PGM_RSRC2:TGID_X_EN: 1
; COMPUTE_PGM_RSRC2:TGID_Y_EN: 0
; COMPUTE_PGM_RSRC2:TGID_Z_EN: 0
; COMPUTE_PGM_RSRC2:TIDIG_COMP_CNT: 0
	.section	.text._Z6kernelI14inclusive_scanfLj62ELj31ELj100EEvPKT0_PS1_S1_,"axG",@progbits,_Z6kernelI14inclusive_scanfLj62ELj31ELj100EEvPKT0_PS1_S1_,comdat
	.protected	_Z6kernelI14inclusive_scanfLj62ELj31ELj100EEvPKT0_PS1_S1_ ; -- Begin function _Z6kernelI14inclusive_scanfLj62ELj31ELj100EEvPKT0_PS1_S1_
	.globl	_Z6kernelI14inclusive_scanfLj62ELj31ELj100EEvPKT0_PS1_S1_
	.p2align	8
	.type	_Z6kernelI14inclusive_scanfLj62ELj31ELj100EEvPKT0_PS1_S1_,@function
_Z6kernelI14inclusive_scanfLj62ELj31ELj100EEvPKT0_PS1_S1_: ; @_Z6kernelI14inclusive_scanfLj62ELj31ELj100EEvPKT0_PS1_S1_
; %bb.0:
	s_load_dword s0, s[4:5], 0x24
	s_load_dwordx4 s[8:11], s[4:5], 0x0
	v_mov_b32_e32 v1, 0
	s_movk_i32 s12, 0x64
	s_waitcnt lgkmcnt(0)
	s_and_b32 s0, s0, 0xffff
	s_mul_i32 s6, s6, s0
	v_add_u32_e32 v0, s6, v0
	v_lshlrev_b64 v[0:1], 2, v[0:1]
	v_mov_b32_e32 v3, s9
	v_add_co_u32_e32 v2, vcc, s8, v0
	v_addc_co_u32_e32 v3, vcc, v3, v1, vcc
	global_load_dword v2, v[2:3], off
	v_mbcnt_lo_u32_b32 v3, -1, 0
	v_mbcnt_hi_u32_b32 v3, -1, v3
	s_mov_b32 s0, 0x8421085
	v_mul_hi_u32 v4, v3, s0
	v_mul_u32_u24_e32 v4, 31, v4
	v_sub_u32_e32 v4, v3, v4
	v_lshlrev_b32_e32 v3, 2, v4
	v_cmp_ne_u32_e32 vcc, 0, v4
	v_cmp_lt_u32_e64 s[0:1], 1, v4
	v_cmp_lt_u32_e64 s[2:3], 3, v4
	;; [unrolled: 1-line block ×4, first 2 shown]
	v_add_u32_e32 v4, -4, v3
	v_add_u32_e32 v5, -8, v3
	;; [unrolled: 1-line block ×3, first 2 shown]
	v_subrev_u32_e32 v7, 32, v3
	v_subrev_u32_e32 v8, 64, v3
	s_branch .LBB10_2
.LBB10_1:                               ;   in Loop: Header=BB10_2 Depth=1
	s_or_b64 exec, exec, s[8:9]
	s_add_i32 s12, s12, -1
	s_cmp_lg_u32 s12, 0
	; wave barrier
	s_cbranch_scc0 .LBB10_22
.LBB10_2:                               ; =>This Inner Loop Header: Depth=1
	s_waitcnt vmcnt(0)
	ds_write_b32 v3, v2
	; wave barrier
	s_and_saveexec_b64 s[8:9], vcc
	s_cbranch_execz .LBB10_4
; %bb.3:                                ;   in Loop: Header=BB10_2 Depth=1
	ds_read_b32 v9, v4
	s_waitcnt lgkmcnt(0)
	v_add_f32_e32 v2, v2, v9
.LBB10_4:                               ;   in Loop: Header=BB10_2 Depth=1
	s_or_b64 exec, exec, s[8:9]
	; wave barrier
	s_and_saveexec_b64 s[8:9], vcc
; %bb.5:                                ;   in Loop: Header=BB10_2 Depth=1
	ds_write_b32 v3, v2
; %bb.6:                                ;   in Loop: Header=BB10_2 Depth=1
	s_or_b64 exec, exec, s[8:9]
	; wave barrier
	s_and_saveexec_b64 s[8:9], s[0:1]
	s_cbranch_execz .LBB10_8
; %bb.7:                                ;   in Loop: Header=BB10_2 Depth=1
	ds_read_b32 v9, v5
	s_waitcnt lgkmcnt(0)
	v_add_f32_e32 v2, v2, v9
.LBB10_8:                               ;   in Loop: Header=BB10_2 Depth=1
	s_or_b64 exec, exec, s[8:9]
	; wave barrier
	s_and_saveexec_b64 s[8:9], s[0:1]
; %bb.9:                                ;   in Loop: Header=BB10_2 Depth=1
	ds_write_b32 v3, v2
; %bb.10:                               ;   in Loop: Header=BB10_2 Depth=1
	s_or_b64 exec, exec, s[8:9]
	; wave barrier
	s_and_saveexec_b64 s[8:9], s[2:3]
	s_cbranch_execz .LBB10_12
; %bb.11:                               ;   in Loop: Header=BB10_2 Depth=1
	ds_read_b32 v9, v6
	s_waitcnt lgkmcnt(0)
	v_add_f32_e32 v2, v2, v9
.LBB10_12:                              ;   in Loop: Header=BB10_2 Depth=1
	s_or_b64 exec, exec, s[8:9]
	; wave barrier
	s_and_saveexec_b64 s[8:9], s[2:3]
; %bb.13:                               ;   in Loop: Header=BB10_2 Depth=1
	ds_write_b32 v3, v2
; %bb.14:                               ;   in Loop: Header=BB10_2 Depth=1
	s_or_b64 exec, exec, s[8:9]
	; wave barrier
	s_and_saveexec_b64 s[8:9], s[4:5]
	s_cbranch_execz .LBB10_16
; %bb.15:                               ;   in Loop: Header=BB10_2 Depth=1
	ds_read_b32 v9, v7
	s_waitcnt lgkmcnt(0)
	v_add_f32_e32 v2, v2, v9
.LBB10_16:                              ;   in Loop: Header=BB10_2 Depth=1
	s_or_b64 exec, exec, s[8:9]
	; wave barrier
	s_and_saveexec_b64 s[8:9], s[4:5]
; %bb.17:                               ;   in Loop: Header=BB10_2 Depth=1
	ds_write_b32 v3, v2
; %bb.18:                               ;   in Loop: Header=BB10_2 Depth=1
	s_or_b64 exec, exec, s[8:9]
	; wave barrier
	s_and_saveexec_b64 s[8:9], s[6:7]
	s_cbranch_execz .LBB10_20
; %bb.19:                               ;   in Loop: Header=BB10_2 Depth=1
	ds_read_b32 v9, v8
	s_waitcnt lgkmcnt(0)
	v_add_f32_e32 v2, v2, v9
.LBB10_20:                              ;   in Loop: Header=BB10_2 Depth=1
	s_or_b64 exec, exec, s[8:9]
	; wave barrier
	s_and_saveexec_b64 s[8:9], s[6:7]
	s_cbranch_execz .LBB10_1
; %bb.21:                               ;   in Loop: Header=BB10_2 Depth=1
	ds_write_b32 v3, v2
	s_branch .LBB10_1
.LBB10_22:
	v_mov_b32_e32 v3, s11
	v_add_co_u32_e32 v0, vcc, s10, v0
	v_addc_co_u32_e32 v1, vcc, v3, v1, vcc
	global_store_dword v[0:1], v2, off
	s_endpgm
	.section	.rodata,"a",@progbits
	.p2align	6, 0x0
	.amdhsa_kernel _Z6kernelI14inclusive_scanfLj62ELj31ELj100EEvPKT0_PS1_S1_
		.amdhsa_group_segment_fixed_size 124
		.amdhsa_private_segment_fixed_size 0
		.amdhsa_kernarg_size 280
		.amdhsa_user_sgpr_count 6
		.amdhsa_user_sgpr_private_segment_buffer 1
		.amdhsa_user_sgpr_dispatch_ptr 0
		.amdhsa_user_sgpr_queue_ptr 0
		.amdhsa_user_sgpr_kernarg_segment_ptr 1
		.amdhsa_user_sgpr_dispatch_id 0
		.amdhsa_user_sgpr_flat_scratch_init 0
		.amdhsa_user_sgpr_private_segment_size 0
		.amdhsa_uses_dynamic_stack 0
		.amdhsa_system_sgpr_private_segment_wavefront_offset 0
		.amdhsa_system_sgpr_workgroup_id_x 1
		.amdhsa_system_sgpr_workgroup_id_y 0
		.amdhsa_system_sgpr_workgroup_id_z 0
		.amdhsa_system_sgpr_workgroup_info 0
		.amdhsa_system_vgpr_workitem_id 0
		.amdhsa_next_free_vgpr 10
		.amdhsa_next_free_sgpr 13
		.amdhsa_reserve_vcc 1
		.amdhsa_reserve_flat_scratch 0
		.amdhsa_float_round_mode_32 0
		.amdhsa_float_round_mode_16_64 0
		.amdhsa_float_denorm_mode_32 3
		.amdhsa_float_denorm_mode_16_64 3
		.amdhsa_dx10_clamp 1
		.amdhsa_ieee_mode 1
		.amdhsa_fp16_overflow 0
		.amdhsa_exception_fp_ieee_invalid_op 0
		.amdhsa_exception_fp_denorm_src 0
		.amdhsa_exception_fp_ieee_div_zero 0
		.amdhsa_exception_fp_ieee_overflow 0
		.amdhsa_exception_fp_ieee_underflow 0
		.amdhsa_exception_fp_ieee_inexact 0
		.amdhsa_exception_int_div_zero 0
	.end_amdhsa_kernel
	.section	.text._Z6kernelI14inclusive_scanfLj62ELj31ELj100EEvPKT0_PS1_S1_,"axG",@progbits,_Z6kernelI14inclusive_scanfLj62ELj31ELj100EEvPKT0_PS1_S1_,comdat
.Lfunc_end10:
	.size	_Z6kernelI14inclusive_scanfLj62ELj31ELj100EEvPKT0_PS1_S1_, .Lfunc_end10-_Z6kernelI14inclusive_scanfLj62ELj31ELj100EEvPKT0_PS1_S1_
                                        ; -- End function
	.set _Z6kernelI14inclusive_scanfLj62ELj31ELj100EEvPKT0_PS1_S1_.num_vgpr, 10
	.set _Z6kernelI14inclusive_scanfLj62ELj31ELj100EEvPKT0_PS1_S1_.num_agpr, 0
	.set _Z6kernelI14inclusive_scanfLj62ELj31ELj100EEvPKT0_PS1_S1_.numbered_sgpr, 13
	.set _Z6kernelI14inclusive_scanfLj62ELj31ELj100EEvPKT0_PS1_S1_.num_named_barrier, 0
	.set _Z6kernelI14inclusive_scanfLj62ELj31ELj100EEvPKT0_PS1_S1_.private_seg_size, 0
	.set _Z6kernelI14inclusive_scanfLj62ELj31ELj100EEvPKT0_PS1_S1_.uses_vcc, 1
	.set _Z6kernelI14inclusive_scanfLj62ELj31ELj100EEvPKT0_PS1_S1_.uses_flat_scratch, 0
	.set _Z6kernelI14inclusive_scanfLj62ELj31ELj100EEvPKT0_PS1_S1_.has_dyn_sized_stack, 0
	.set _Z6kernelI14inclusive_scanfLj62ELj31ELj100EEvPKT0_PS1_S1_.has_recursion, 0
	.set _Z6kernelI14inclusive_scanfLj62ELj31ELj100EEvPKT0_PS1_S1_.has_indirect_call, 0
	.section	.AMDGPU.csdata,"",@progbits
; Kernel info:
; codeLenInByte = 452
; TotalNumSgprs: 17
; NumVgprs: 10
; ScratchSize: 0
; MemoryBound: 0
; FloatMode: 240
; IeeeMode: 1
; LDSByteSize: 124 bytes/workgroup (compile time only)
; SGPRBlocks: 2
; VGPRBlocks: 2
; NumSGPRsForWavesPerEU: 17
; NumVGPRsForWavesPerEU: 10
; Occupancy: 10
; WaveLimiterHint : 0
; COMPUTE_PGM_RSRC2:SCRATCH_EN: 0
; COMPUTE_PGM_RSRC2:USER_SGPR: 6
; COMPUTE_PGM_RSRC2:TRAP_HANDLER: 0
; COMPUTE_PGM_RSRC2:TGID_X_EN: 1
; COMPUTE_PGM_RSRC2:TGID_Y_EN: 0
; COMPUTE_PGM_RSRC2:TGID_Z_EN: 0
; COMPUTE_PGM_RSRC2:TIDIG_COMP_CNT: 0
	.section	.text._Z6kernelI14inclusive_scanfLj256ELj32ELj100EEvPKT0_PS1_S1_,"axG",@progbits,_Z6kernelI14inclusive_scanfLj256ELj32ELj100EEvPKT0_PS1_S1_,comdat
	.protected	_Z6kernelI14inclusive_scanfLj256ELj32ELj100EEvPKT0_PS1_S1_ ; -- Begin function _Z6kernelI14inclusive_scanfLj256ELj32ELj100EEvPKT0_PS1_S1_
	.globl	_Z6kernelI14inclusive_scanfLj256ELj32ELj100EEvPKT0_PS1_S1_
	.p2align	8
	.type	_Z6kernelI14inclusive_scanfLj256ELj32ELj100EEvPKT0_PS1_S1_,@function
_Z6kernelI14inclusive_scanfLj256ELj32ELj100EEvPKT0_PS1_S1_: ; @_Z6kernelI14inclusive_scanfLj256ELj32ELj100EEvPKT0_PS1_S1_
; %bb.0:
	s_load_dword s0, s[4:5], 0x24
	s_load_dwordx4 s[8:11], s[4:5], 0x0
	v_mov_b32_e32 v1, 0
	s_waitcnt lgkmcnt(0)
	s_and_b32 s0, s0, 0xffff
	s_mul_i32 s6, s6, s0
	v_add_u32_e32 v0, s6, v0
	v_lshlrev_b64 v[0:1], 2, v[0:1]
	v_mov_b32_e32 v3, s9
	v_add_co_u32_e32 v2, vcc, s8, v0
	v_addc_co_u32_e32 v3, vcc, v3, v1, vcc
	global_load_dword v2, v[2:3], off
	v_mbcnt_lo_u32_b32 v3, -1, 0
	v_mbcnt_hi_u32_b32 v3, -1, v3
	v_and_b32_e32 v4, 15, v3
	v_and_b32_e32 v3, 16, v3
	v_cmp_eq_u32_e32 vcc, 0, v4
	v_cmp_lt_u32_e64 s[0:1], 1, v4
	v_cmp_lt_u32_e64 s[2:3], 3, v4
	;; [unrolled: 1-line block ×3, first 2 shown]
	v_cmp_eq_u32_e64 s[6:7], 0, v3
	s_movk_i32 s8, 0x64
.LBB11_1:                               ; =>This Inner Loop Header: Depth=1
	s_waitcnt vmcnt(0)
	v_mov_b32_dpp v3, v2 row_shr:1 row_mask:0xf bank_mask:0xf
	v_add_f32_e32 v3, v2, v3
	v_cndmask_b32_e32 v2, v3, v2, vcc
	s_add_i32 s8, s8, -1
	s_cmp_lg_u32 s8, 0
	v_mov_b32_dpp v3, v2 row_shr:2 row_mask:0xf bank_mask:0xf
	v_add_f32_e32 v3, v2, v3
	v_cndmask_b32_e64 v2, v2, v3, s[0:1]
	s_nop 1
	v_mov_b32_dpp v3, v2 row_shr:4 row_mask:0xf bank_mask:0xf
	v_add_f32_e32 v3, v2, v3
	v_cndmask_b32_e64 v2, v2, v3, s[2:3]
	s_nop 1
	;; [unrolled: 4-line block ×3, first 2 shown]
	v_mov_b32_dpp v3, v2 row_bcast:15 row_mask:0xf bank_mask:0xf
	v_add_f32_e32 v3, v2, v3
	v_cndmask_b32_e64 v2, v3, v2, s[6:7]
	s_cbranch_scc1 .LBB11_1
; %bb.2:
	v_mov_b32_e32 v3, s11
	v_add_co_u32_e32 v0, vcc, s10, v0
	v_addc_co_u32_e32 v1, vcc, v3, v1, vcc
	global_store_dword v[0:1], v2, off
	s_endpgm
	.section	.rodata,"a",@progbits
	.p2align	6, 0x0
	.amdhsa_kernel _Z6kernelI14inclusive_scanfLj256ELj32ELj100EEvPKT0_PS1_S1_
		.amdhsa_group_segment_fixed_size 0
		.amdhsa_private_segment_fixed_size 0
		.amdhsa_kernarg_size 280
		.amdhsa_user_sgpr_count 6
		.amdhsa_user_sgpr_private_segment_buffer 1
		.amdhsa_user_sgpr_dispatch_ptr 0
		.amdhsa_user_sgpr_queue_ptr 0
		.amdhsa_user_sgpr_kernarg_segment_ptr 1
		.amdhsa_user_sgpr_dispatch_id 0
		.amdhsa_user_sgpr_flat_scratch_init 0
		.amdhsa_user_sgpr_private_segment_size 0
		.amdhsa_uses_dynamic_stack 0
		.amdhsa_system_sgpr_private_segment_wavefront_offset 0
		.amdhsa_system_sgpr_workgroup_id_x 1
		.amdhsa_system_sgpr_workgroup_id_y 0
		.amdhsa_system_sgpr_workgroup_id_z 0
		.amdhsa_system_sgpr_workgroup_info 0
		.amdhsa_system_vgpr_workitem_id 0
		.amdhsa_next_free_vgpr 5
		.amdhsa_next_free_sgpr 12
		.amdhsa_reserve_vcc 1
		.amdhsa_reserve_flat_scratch 0
		.amdhsa_float_round_mode_32 0
		.amdhsa_float_round_mode_16_64 0
		.amdhsa_float_denorm_mode_32 3
		.amdhsa_float_denorm_mode_16_64 3
		.amdhsa_dx10_clamp 1
		.amdhsa_ieee_mode 1
		.amdhsa_fp16_overflow 0
		.amdhsa_exception_fp_ieee_invalid_op 0
		.amdhsa_exception_fp_denorm_src 0
		.amdhsa_exception_fp_ieee_div_zero 0
		.amdhsa_exception_fp_ieee_overflow 0
		.amdhsa_exception_fp_ieee_underflow 0
		.amdhsa_exception_fp_ieee_inexact 0
		.amdhsa_exception_int_div_zero 0
	.end_amdhsa_kernel
	.section	.text._Z6kernelI14inclusive_scanfLj256ELj32ELj100EEvPKT0_PS1_S1_,"axG",@progbits,_Z6kernelI14inclusive_scanfLj256ELj32ELj100EEvPKT0_PS1_S1_,comdat
.Lfunc_end11:
	.size	_Z6kernelI14inclusive_scanfLj256ELj32ELj100EEvPKT0_PS1_S1_, .Lfunc_end11-_Z6kernelI14inclusive_scanfLj256ELj32ELj100EEvPKT0_PS1_S1_
                                        ; -- End function
	.set _Z6kernelI14inclusive_scanfLj256ELj32ELj100EEvPKT0_PS1_S1_.num_vgpr, 5
	.set _Z6kernelI14inclusive_scanfLj256ELj32ELj100EEvPKT0_PS1_S1_.num_agpr, 0
	.set _Z6kernelI14inclusive_scanfLj256ELj32ELj100EEvPKT0_PS1_S1_.numbered_sgpr, 12
	.set _Z6kernelI14inclusive_scanfLj256ELj32ELj100EEvPKT0_PS1_S1_.num_named_barrier, 0
	.set _Z6kernelI14inclusive_scanfLj256ELj32ELj100EEvPKT0_PS1_S1_.private_seg_size, 0
	.set _Z6kernelI14inclusive_scanfLj256ELj32ELj100EEvPKT0_PS1_S1_.uses_vcc, 1
	.set _Z6kernelI14inclusive_scanfLj256ELj32ELj100EEvPKT0_PS1_S1_.uses_flat_scratch, 0
	.set _Z6kernelI14inclusive_scanfLj256ELj32ELj100EEvPKT0_PS1_S1_.has_dyn_sized_stack, 0
	.set _Z6kernelI14inclusive_scanfLj256ELj32ELj100EEvPKT0_PS1_S1_.has_recursion, 0
	.set _Z6kernelI14inclusive_scanfLj256ELj32ELj100EEvPKT0_PS1_S1_.has_indirect_call, 0
	.section	.AMDGPU.csdata,"",@progbits
; Kernel info:
; codeLenInByte = 280
; TotalNumSgprs: 16
; NumVgprs: 5
; ScratchSize: 0
; MemoryBound: 0
; FloatMode: 240
; IeeeMode: 1
; LDSByteSize: 0 bytes/workgroup (compile time only)
; SGPRBlocks: 1
; VGPRBlocks: 1
; NumSGPRsForWavesPerEU: 16
; NumVGPRsForWavesPerEU: 5
; Occupancy: 10
; WaveLimiterHint : 0
; COMPUTE_PGM_RSRC2:SCRATCH_EN: 0
; COMPUTE_PGM_RSRC2:USER_SGPR: 6
; COMPUTE_PGM_RSRC2:TRAP_HANDLER: 0
; COMPUTE_PGM_RSRC2:TGID_X_EN: 1
; COMPUTE_PGM_RSRC2:TGID_Y_EN: 0
; COMPUTE_PGM_RSRC2:TGID_Z_EN: 0
; COMPUTE_PGM_RSRC2:TIDIG_COMP_CNT: 0
	.section	.text._Z6kernelI14inclusive_scanfLj63ELj63ELj100EEvPKT0_PS1_S1_,"axG",@progbits,_Z6kernelI14inclusive_scanfLj63ELj63ELj100EEvPKT0_PS1_S1_,comdat
	.protected	_Z6kernelI14inclusive_scanfLj63ELj63ELj100EEvPKT0_PS1_S1_ ; -- Begin function _Z6kernelI14inclusive_scanfLj63ELj63ELj100EEvPKT0_PS1_S1_
	.globl	_Z6kernelI14inclusive_scanfLj63ELj63ELj100EEvPKT0_PS1_S1_
	.p2align	8
	.type	_Z6kernelI14inclusive_scanfLj63ELj63ELj100EEvPKT0_PS1_S1_,@function
_Z6kernelI14inclusive_scanfLj63ELj63ELj100EEvPKT0_PS1_S1_: ; @_Z6kernelI14inclusive_scanfLj63ELj63ELj100EEvPKT0_PS1_S1_
; %bb.0:
	s_load_dword s0, s[4:5], 0x24
	s_load_dwordx4 s[8:11], s[4:5], 0x0
	v_mov_b32_e32 v1, 0
	s_movk_i32 s14, 0x64
	s_waitcnt lgkmcnt(0)
	s_and_b32 s0, s0, 0xffff
	s_mul_i32 s6, s6, s0
	v_add_u32_e32 v0, s6, v0
	v_lshlrev_b64 v[0:1], 2, v[0:1]
	v_mov_b32_e32 v3, s9
	v_add_co_u32_e32 v2, vcc, s8, v0
	v_addc_co_u32_e32 v3, vcc, v3, v1, vcc
	global_load_dword v2, v[2:3], off
	v_mbcnt_lo_u32_b32 v3, -1, 0
	v_mbcnt_hi_u32_b32 v3, -1, v3
	s_mov_b32 s0, 0x4104105
	v_mul_hi_u32 v4, v3, s0
	v_mul_u32_u24_e32 v4, 63, v4
	v_sub_u32_e32 v4, v3, v4
	v_lshlrev_b32_e32 v3, 2, v4
	v_cmp_ne_u32_e32 vcc, 0, v4
	v_cmp_lt_u32_e64 s[0:1], 1, v4
	v_cmp_lt_u32_e64 s[2:3], 3, v4
	;; [unrolled: 1-line block ×5, first 2 shown]
	v_add_u32_e32 v4, -4, v3
	v_add_u32_e32 v5, -8, v3
	;; [unrolled: 1-line block ×3, first 2 shown]
	v_subrev_u32_e32 v7, 32, v3
	v_subrev_u32_e32 v8, 64, v3
	v_add_u32_e32 v9, 0xffffff80, v3
	s_branch .LBB12_2
.LBB12_1:                               ;   in Loop: Header=BB12_2 Depth=1
	s_or_b64 exec, exec, s[12:13]
	s_add_i32 s14, s14, -1
	s_cmp_lg_u32 s14, 0
	; wave barrier
	s_cbranch_scc0 .LBB12_26
.LBB12_2:                               ; =>This Inner Loop Header: Depth=1
	s_waitcnt vmcnt(0)
	ds_write_b32 v3, v2
	; wave barrier
	s_and_saveexec_b64 s[12:13], vcc
	s_cbranch_execz .LBB12_4
; %bb.3:                                ;   in Loop: Header=BB12_2 Depth=1
	ds_read_b32 v10, v4
	s_waitcnt lgkmcnt(0)
	v_add_f32_e32 v2, v2, v10
.LBB12_4:                               ;   in Loop: Header=BB12_2 Depth=1
	s_or_b64 exec, exec, s[12:13]
	; wave barrier
	s_and_saveexec_b64 s[12:13], vcc
; %bb.5:                                ;   in Loop: Header=BB12_2 Depth=1
	ds_write_b32 v3, v2
; %bb.6:                                ;   in Loop: Header=BB12_2 Depth=1
	s_or_b64 exec, exec, s[12:13]
	; wave barrier
	s_and_saveexec_b64 s[12:13], s[0:1]
	s_cbranch_execz .LBB12_8
; %bb.7:                                ;   in Loop: Header=BB12_2 Depth=1
	ds_read_b32 v10, v5
	s_waitcnt lgkmcnt(0)
	v_add_f32_e32 v2, v2, v10
.LBB12_8:                               ;   in Loop: Header=BB12_2 Depth=1
	s_or_b64 exec, exec, s[12:13]
	; wave barrier
	s_and_saveexec_b64 s[12:13], s[0:1]
; %bb.9:                                ;   in Loop: Header=BB12_2 Depth=1
	ds_write_b32 v3, v2
; %bb.10:                               ;   in Loop: Header=BB12_2 Depth=1
	s_or_b64 exec, exec, s[12:13]
	; wave barrier
	s_and_saveexec_b64 s[12:13], s[2:3]
	s_cbranch_execz .LBB12_12
; %bb.11:                               ;   in Loop: Header=BB12_2 Depth=1
	ds_read_b32 v10, v6
	s_waitcnt lgkmcnt(0)
	v_add_f32_e32 v2, v2, v10
.LBB12_12:                              ;   in Loop: Header=BB12_2 Depth=1
	s_or_b64 exec, exec, s[12:13]
	; wave barrier
	s_and_saveexec_b64 s[12:13], s[2:3]
; %bb.13:                               ;   in Loop: Header=BB12_2 Depth=1
	ds_write_b32 v3, v2
; %bb.14:                               ;   in Loop: Header=BB12_2 Depth=1
	s_or_b64 exec, exec, s[12:13]
	; wave barrier
	s_and_saveexec_b64 s[12:13], s[4:5]
	s_cbranch_execz .LBB12_16
; %bb.15:                               ;   in Loop: Header=BB12_2 Depth=1
	ds_read_b32 v10, v7
	s_waitcnt lgkmcnt(0)
	v_add_f32_e32 v2, v2, v10
.LBB12_16:                              ;   in Loop: Header=BB12_2 Depth=1
	s_or_b64 exec, exec, s[12:13]
	; wave barrier
	s_and_saveexec_b64 s[12:13], s[4:5]
; %bb.17:                               ;   in Loop: Header=BB12_2 Depth=1
	;; [unrolled: 15-line block ×3, first 2 shown]
	ds_write_b32 v3, v2
; %bb.22:                               ;   in Loop: Header=BB12_2 Depth=1
	s_or_b64 exec, exec, s[12:13]
	; wave barrier
	s_and_saveexec_b64 s[12:13], s[8:9]
	s_cbranch_execz .LBB12_24
; %bb.23:                               ;   in Loop: Header=BB12_2 Depth=1
	ds_read_b32 v10, v9
	s_waitcnt lgkmcnt(0)
	v_add_f32_e32 v2, v2, v10
.LBB12_24:                              ;   in Loop: Header=BB12_2 Depth=1
	s_or_b64 exec, exec, s[12:13]
	; wave barrier
	s_and_saveexec_b64 s[12:13], s[8:9]
	s_cbranch_execz .LBB12_1
; %bb.25:                               ;   in Loop: Header=BB12_2 Depth=1
	ds_write_b32 v3, v2
	s_branch .LBB12_1
.LBB12_26:
	v_mov_b32_e32 v3, s11
	v_add_co_u32_e32 v0, vcc, s10, v0
	v_addc_co_u32_e32 v1, vcc, v3, v1, vcc
	global_store_dword v[0:1], v2, off
	s_endpgm
	.section	.rodata,"a",@progbits
	.p2align	6, 0x0
	.amdhsa_kernel _Z6kernelI14inclusive_scanfLj63ELj63ELj100EEvPKT0_PS1_S1_
		.amdhsa_group_segment_fixed_size 252
		.amdhsa_private_segment_fixed_size 0
		.amdhsa_kernarg_size 280
		.amdhsa_user_sgpr_count 6
		.amdhsa_user_sgpr_private_segment_buffer 1
		.amdhsa_user_sgpr_dispatch_ptr 0
		.amdhsa_user_sgpr_queue_ptr 0
		.amdhsa_user_sgpr_kernarg_segment_ptr 1
		.amdhsa_user_sgpr_dispatch_id 0
		.amdhsa_user_sgpr_flat_scratch_init 0
		.amdhsa_user_sgpr_private_segment_size 0
		.amdhsa_uses_dynamic_stack 0
		.amdhsa_system_sgpr_private_segment_wavefront_offset 0
		.amdhsa_system_sgpr_workgroup_id_x 1
		.amdhsa_system_sgpr_workgroup_id_y 0
		.amdhsa_system_sgpr_workgroup_id_z 0
		.amdhsa_system_sgpr_workgroup_info 0
		.amdhsa_system_vgpr_workitem_id 0
		.amdhsa_next_free_vgpr 11
		.amdhsa_next_free_sgpr 15
		.amdhsa_reserve_vcc 1
		.amdhsa_reserve_flat_scratch 0
		.amdhsa_float_round_mode_32 0
		.amdhsa_float_round_mode_16_64 0
		.amdhsa_float_denorm_mode_32 3
		.amdhsa_float_denorm_mode_16_64 3
		.amdhsa_dx10_clamp 1
		.amdhsa_ieee_mode 1
		.amdhsa_fp16_overflow 0
		.amdhsa_exception_fp_ieee_invalid_op 0
		.amdhsa_exception_fp_denorm_src 0
		.amdhsa_exception_fp_ieee_div_zero 0
		.amdhsa_exception_fp_ieee_overflow 0
		.amdhsa_exception_fp_ieee_underflow 0
		.amdhsa_exception_fp_ieee_inexact 0
		.amdhsa_exception_int_div_zero 0
	.end_amdhsa_kernel
	.section	.text._Z6kernelI14inclusive_scanfLj63ELj63ELj100EEvPKT0_PS1_S1_,"axG",@progbits,_Z6kernelI14inclusive_scanfLj63ELj63ELj100EEvPKT0_PS1_S1_,comdat
.Lfunc_end12:
	.size	_Z6kernelI14inclusive_scanfLj63ELj63ELj100EEvPKT0_PS1_S1_, .Lfunc_end12-_Z6kernelI14inclusive_scanfLj63ELj63ELj100EEvPKT0_PS1_S1_
                                        ; -- End function
	.set _Z6kernelI14inclusive_scanfLj63ELj63ELj100EEvPKT0_PS1_S1_.num_vgpr, 11
	.set _Z6kernelI14inclusive_scanfLj63ELj63ELj100EEvPKT0_PS1_S1_.num_agpr, 0
	.set _Z6kernelI14inclusive_scanfLj63ELj63ELj100EEvPKT0_PS1_S1_.numbered_sgpr, 15
	.set _Z6kernelI14inclusive_scanfLj63ELj63ELj100EEvPKT0_PS1_S1_.num_named_barrier, 0
	.set _Z6kernelI14inclusive_scanfLj63ELj63ELj100EEvPKT0_PS1_S1_.private_seg_size, 0
	.set _Z6kernelI14inclusive_scanfLj63ELj63ELj100EEvPKT0_PS1_S1_.uses_vcc, 1
	.set _Z6kernelI14inclusive_scanfLj63ELj63ELj100EEvPKT0_PS1_S1_.uses_flat_scratch, 0
	.set _Z6kernelI14inclusive_scanfLj63ELj63ELj100EEvPKT0_PS1_S1_.has_dyn_sized_stack, 0
	.set _Z6kernelI14inclusive_scanfLj63ELj63ELj100EEvPKT0_PS1_S1_.has_recursion, 0
	.set _Z6kernelI14inclusive_scanfLj63ELj63ELj100EEvPKT0_PS1_S1_.has_indirect_call, 0
	.section	.AMDGPU.csdata,"",@progbits
; Kernel info:
; codeLenInByte = 512
; TotalNumSgprs: 19
; NumVgprs: 11
; ScratchSize: 0
; MemoryBound: 0
; FloatMode: 240
; IeeeMode: 1
; LDSByteSize: 252 bytes/workgroup (compile time only)
; SGPRBlocks: 2
; VGPRBlocks: 2
; NumSGPRsForWavesPerEU: 19
; NumVGPRsForWavesPerEU: 11
; Occupancy: 10
; WaveLimiterHint : 0
; COMPUTE_PGM_RSRC2:SCRATCH_EN: 0
; COMPUTE_PGM_RSRC2:USER_SGPR: 6
; COMPUTE_PGM_RSRC2:TRAP_HANDLER: 0
; COMPUTE_PGM_RSRC2:TGID_X_EN: 1
; COMPUTE_PGM_RSRC2:TGID_Y_EN: 0
; COMPUTE_PGM_RSRC2:TGID_Z_EN: 0
; COMPUTE_PGM_RSRC2:TIDIG_COMP_CNT: 0
	.section	.text._Z6kernelI14inclusive_scanfLj64ELj64ELj100EEvPKT0_PS1_S1_,"axG",@progbits,_Z6kernelI14inclusive_scanfLj64ELj64ELj100EEvPKT0_PS1_S1_,comdat
	.protected	_Z6kernelI14inclusive_scanfLj64ELj64ELj100EEvPKT0_PS1_S1_ ; -- Begin function _Z6kernelI14inclusive_scanfLj64ELj64ELj100EEvPKT0_PS1_S1_
	.globl	_Z6kernelI14inclusive_scanfLj64ELj64ELj100EEvPKT0_PS1_S1_
	.p2align	8
	.type	_Z6kernelI14inclusive_scanfLj64ELj64ELj100EEvPKT0_PS1_S1_,@function
_Z6kernelI14inclusive_scanfLj64ELj64ELj100EEvPKT0_PS1_S1_: ; @_Z6kernelI14inclusive_scanfLj64ELj64ELj100EEvPKT0_PS1_S1_
; %bb.0:
	s_load_dword s0, s[4:5], 0x24
	s_load_dwordx4 s[8:11], s[4:5], 0x0
	v_mov_b32_e32 v1, 0
	s_movk_i32 s12, 0x64
	s_waitcnt lgkmcnt(0)
	s_and_b32 s0, s0, 0xffff
	s_mul_i32 s6, s6, s0
	v_add_u32_e32 v0, s6, v0
	v_lshlrev_b64 v[0:1], 2, v[0:1]
	v_mov_b32_e32 v3, s9
	v_add_co_u32_e32 v2, vcc, s8, v0
	v_addc_co_u32_e32 v3, vcc, v3, v1, vcc
	global_load_dword v2, v[2:3], off
	v_mbcnt_lo_u32_b32 v3, -1, 0
	v_mbcnt_hi_u32_b32 v3, -1, v3
	v_and_b32_e32 v4, 15, v3
	v_cmp_eq_u32_e32 vcc, 0, v4
	v_cmp_lt_u32_e64 s[0:1], 1, v4
	v_cmp_lt_u32_e64 s[2:3], 3, v4
	;; [unrolled: 1-line block ×3, first 2 shown]
	v_and_b32_e32 v4, 16, v3
	v_cmp_eq_u32_e64 s[6:7], 0, v4
	v_cmp_lt_u32_e64 s[8:9], 31, v3
.LBB13_1:                               ; =>This Inner Loop Header: Depth=1
	s_waitcnt vmcnt(0)
	v_mov_b32_dpp v3, v2 row_shr:1 row_mask:0xf bank_mask:0xf
	v_add_f32_e32 v3, v2, v3
	v_cndmask_b32_e32 v2, v3, v2, vcc
	s_add_i32 s12, s12, -1
	s_cmp_lg_u32 s12, 0
	v_mov_b32_dpp v3, v2 row_shr:2 row_mask:0xf bank_mask:0xf
	v_add_f32_e32 v3, v2, v3
	v_cndmask_b32_e64 v2, v2, v3, s[0:1]
	s_nop 1
	v_mov_b32_dpp v3, v2 row_shr:4 row_mask:0xf bank_mask:0xf
	v_add_f32_e32 v3, v2, v3
	v_cndmask_b32_e64 v2, v2, v3, s[2:3]
	s_nop 1
	;; [unrolled: 4-line block ×3, first 2 shown]
	v_mov_b32_dpp v3, v2 row_bcast:15 row_mask:0xf bank_mask:0xf
	v_add_f32_e32 v3, v2, v3
	v_cndmask_b32_e64 v2, v3, v2, s[6:7]
	s_nop 1
	v_mov_b32_dpp v3, v2 row_bcast:31 row_mask:0xf bank_mask:0xf
	v_add_f32_e32 v3, v2, v3
	v_cndmask_b32_e64 v2, v2, v3, s[8:9]
	s_cbranch_scc1 .LBB13_1
; %bb.2:
	v_mov_b32_e32 v3, s11
	v_add_co_u32_e32 v0, vcc, s10, v0
	v_addc_co_u32_e32 v1, vcc, v3, v1, vcc
	global_store_dword v[0:1], v2, off
	s_endpgm
	.section	.rodata,"a",@progbits
	.p2align	6, 0x0
	.amdhsa_kernel _Z6kernelI14inclusive_scanfLj64ELj64ELj100EEvPKT0_PS1_S1_
		.amdhsa_group_segment_fixed_size 0
		.amdhsa_private_segment_fixed_size 0
		.amdhsa_kernarg_size 280
		.amdhsa_user_sgpr_count 6
		.amdhsa_user_sgpr_private_segment_buffer 1
		.amdhsa_user_sgpr_dispatch_ptr 0
		.amdhsa_user_sgpr_queue_ptr 0
		.amdhsa_user_sgpr_kernarg_segment_ptr 1
		.amdhsa_user_sgpr_dispatch_id 0
		.amdhsa_user_sgpr_flat_scratch_init 0
		.amdhsa_user_sgpr_private_segment_size 0
		.amdhsa_uses_dynamic_stack 0
		.amdhsa_system_sgpr_private_segment_wavefront_offset 0
		.amdhsa_system_sgpr_workgroup_id_x 1
		.amdhsa_system_sgpr_workgroup_id_y 0
		.amdhsa_system_sgpr_workgroup_id_z 0
		.amdhsa_system_sgpr_workgroup_info 0
		.amdhsa_system_vgpr_workitem_id 0
		.amdhsa_next_free_vgpr 5
		.amdhsa_next_free_sgpr 13
		.amdhsa_reserve_vcc 1
		.amdhsa_reserve_flat_scratch 0
		.amdhsa_float_round_mode_32 0
		.amdhsa_float_round_mode_16_64 0
		.amdhsa_float_denorm_mode_32 3
		.amdhsa_float_denorm_mode_16_64 3
		.amdhsa_dx10_clamp 1
		.amdhsa_ieee_mode 1
		.amdhsa_fp16_overflow 0
		.amdhsa_exception_fp_ieee_invalid_op 0
		.amdhsa_exception_fp_denorm_src 0
		.amdhsa_exception_fp_ieee_div_zero 0
		.amdhsa_exception_fp_ieee_overflow 0
		.amdhsa_exception_fp_ieee_underflow 0
		.amdhsa_exception_fp_ieee_inexact 0
		.amdhsa_exception_int_div_zero 0
	.end_amdhsa_kernel
	.section	.text._Z6kernelI14inclusive_scanfLj64ELj64ELj100EEvPKT0_PS1_S1_,"axG",@progbits,_Z6kernelI14inclusive_scanfLj64ELj64ELj100EEvPKT0_PS1_S1_,comdat
.Lfunc_end13:
	.size	_Z6kernelI14inclusive_scanfLj64ELj64ELj100EEvPKT0_PS1_S1_, .Lfunc_end13-_Z6kernelI14inclusive_scanfLj64ELj64ELj100EEvPKT0_PS1_S1_
                                        ; -- End function
	.set _Z6kernelI14inclusive_scanfLj64ELj64ELj100EEvPKT0_PS1_S1_.num_vgpr, 5
	.set _Z6kernelI14inclusive_scanfLj64ELj64ELj100EEvPKT0_PS1_S1_.num_agpr, 0
	.set _Z6kernelI14inclusive_scanfLj64ELj64ELj100EEvPKT0_PS1_S1_.numbered_sgpr, 13
	.set _Z6kernelI14inclusive_scanfLj64ELj64ELj100EEvPKT0_PS1_S1_.num_named_barrier, 0
	.set _Z6kernelI14inclusive_scanfLj64ELj64ELj100EEvPKT0_PS1_S1_.private_seg_size, 0
	.set _Z6kernelI14inclusive_scanfLj64ELj64ELj100EEvPKT0_PS1_S1_.uses_vcc, 1
	.set _Z6kernelI14inclusive_scanfLj64ELj64ELj100EEvPKT0_PS1_S1_.uses_flat_scratch, 0
	.set _Z6kernelI14inclusive_scanfLj64ELj64ELj100EEvPKT0_PS1_S1_.has_dyn_sized_stack, 0
	.set _Z6kernelI14inclusive_scanfLj64ELj64ELj100EEvPKT0_PS1_S1_.has_recursion, 0
	.set _Z6kernelI14inclusive_scanfLj64ELj64ELj100EEvPKT0_PS1_S1_.has_indirect_call, 0
	.section	.AMDGPU.csdata,"",@progbits
; Kernel info:
; codeLenInByte = 312
; TotalNumSgprs: 17
; NumVgprs: 5
; ScratchSize: 0
; MemoryBound: 0
; FloatMode: 240
; IeeeMode: 1
; LDSByteSize: 0 bytes/workgroup (compile time only)
; SGPRBlocks: 2
; VGPRBlocks: 1
; NumSGPRsForWavesPerEU: 17
; NumVGPRsForWavesPerEU: 5
; Occupancy: 10
; WaveLimiterHint : 0
; COMPUTE_PGM_RSRC2:SCRATCH_EN: 0
; COMPUTE_PGM_RSRC2:USER_SGPR: 6
; COMPUTE_PGM_RSRC2:TRAP_HANDLER: 0
; COMPUTE_PGM_RSRC2:TGID_X_EN: 1
; COMPUTE_PGM_RSRC2:TGID_Y_EN: 0
; COMPUTE_PGM_RSRC2:TGID_Z_EN: 0
; COMPUTE_PGM_RSRC2:TIDIG_COMP_CNT: 0
	.section	.text._Z6kernelI14inclusive_scanfLj128ELj64ELj100EEvPKT0_PS1_S1_,"axG",@progbits,_Z6kernelI14inclusive_scanfLj128ELj64ELj100EEvPKT0_PS1_S1_,comdat
	.protected	_Z6kernelI14inclusive_scanfLj128ELj64ELj100EEvPKT0_PS1_S1_ ; -- Begin function _Z6kernelI14inclusive_scanfLj128ELj64ELj100EEvPKT0_PS1_S1_
	.globl	_Z6kernelI14inclusive_scanfLj128ELj64ELj100EEvPKT0_PS1_S1_
	.p2align	8
	.type	_Z6kernelI14inclusive_scanfLj128ELj64ELj100EEvPKT0_PS1_S1_,@function
_Z6kernelI14inclusive_scanfLj128ELj64ELj100EEvPKT0_PS1_S1_: ; @_Z6kernelI14inclusive_scanfLj128ELj64ELj100EEvPKT0_PS1_S1_
; %bb.0:
	s_load_dword s0, s[4:5], 0x24
	s_load_dwordx4 s[8:11], s[4:5], 0x0
	v_mov_b32_e32 v1, 0
	s_movk_i32 s12, 0x64
	s_waitcnt lgkmcnt(0)
	s_and_b32 s0, s0, 0xffff
	s_mul_i32 s6, s6, s0
	v_add_u32_e32 v0, s6, v0
	v_lshlrev_b64 v[0:1], 2, v[0:1]
	v_mov_b32_e32 v3, s9
	v_add_co_u32_e32 v2, vcc, s8, v0
	v_addc_co_u32_e32 v3, vcc, v3, v1, vcc
	global_load_dword v2, v[2:3], off
	v_mbcnt_lo_u32_b32 v3, -1, 0
	v_mbcnt_hi_u32_b32 v3, -1, v3
	v_and_b32_e32 v4, 15, v3
	v_cmp_eq_u32_e32 vcc, 0, v4
	v_cmp_lt_u32_e64 s[0:1], 1, v4
	v_cmp_lt_u32_e64 s[2:3], 3, v4
	;; [unrolled: 1-line block ×3, first 2 shown]
	v_and_b32_e32 v4, 16, v3
	v_cmp_eq_u32_e64 s[6:7], 0, v4
	v_cmp_lt_u32_e64 s[8:9], 31, v3
.LBB14_1:                               ; =>This Inner Loop Header: Depth=1
	s_waitcnt vmcnt(0)
	v_mov_b32_dpp v3, v2 row_shr:1 row_mask:0xf bank_mask:0xf
	v_add_f32_e32 v3, v2, v3
	v_cndmask_b32_e32 v2, v3, v2, vcc
	s_add_i32 s12, s12, -1
	s_cmp_lg_u32 s12, 0
	v_mov_b32_dpp v3, v2 row_shr:2 row_mask:0xf bank_mask:0xf
	v_add_f32_e32 v3, v2, v3
	v_cndmask_b32_e64 v2, v2, v3, s[0:1]
	s_nop 1
	v_mov_b32_dpp v3, v2 row_shr:4 row_mask:0xf bank_mask:0xf
	v_add_f32_e32 v3, v2, v3
	v_cndmask_b32_e64 v2, v2, v3, s[2:3]
	s_nop 1
	;; [unrolled: 4-line block ×3, first 2 shown]
	v_mov_b32_dpp v3, v2 row_bcast:15 row_mask:0xf bank_mask:0xf
	v_add_f32_e32 v3, v2, v3
	v_cndmask_b32_e64 v2, v3, v2, s[6:7]
	s_nop 1
	v_mov_b32_dpp v3, v2 row_bcast:31 row_mask:0xf bank_mask:0xf
	v_add_f32_e32 v3, v2, v3
	v_cndmask_b32_e64 v2, v2, v3, s[8:9]
	s_cbranch_scc1 .LBB14_1
; %bb.2:
	v_mov_b32_e32 v3, s11
	v_add_co_u32_e32 v0, vcc, s10, v0
	v_addc_co_u32_e32 v1, vcc, v3, v1, vcc
	global_store_dword v[0:1], v2, off
	s_endpgm
	.section	.rodata,"a",@progbits
	.p2align	6, 0x0
	.amdhsa_kernel _Z6kernelI14inclusive_scanfLj128ELj64ELj100EEvPKT0_PS1_S1_
		.amdhsa_group_segment_fixed_size 0
		.amdhsa_private_segment_fixed_size 0
		.amdhsa_kernarg_size 280
		.amdhsa_user_sgpr_count 6
		.amdhsa_user_sgpr_private_segment_buffer 1
		.amdhsa_user_sgpr_dispatch_ptr 0
		.amdhsa_user_sgpr_queue_ptr 0
		.amdhsa_user_sgpr_kernarg_segment_ptr 1
		.amdhsa_user_sgpr_dispatch_id 0
		.amdhsa_user_sgpr_flat_scratch_init 0
		.amdhsa_user_sgpr_private_segment_size 0
		.amdhsa_uses_dynamic_stack 0
		.amdhsa_system_sgpr_private_segment_wavefront_offset 0
		.amdhsa_system_sgpr_workgroup_id_x 1
		.amdhsa_system_sgpr_workgroup_id_y 0
		.amdhsa_system_sgpr_workgroup_id_z 0
		.amdhsa_system_sgpr_workgroup_info 0
		.amdhsa_system_vgpr_workitem_id 0
		.amdhsa_next_free_vgpr 5
		.amdhsa_next_free_sgpr 13
		.amdhsa_reserve_vcc 1
		.amdhsa_reserve_flat_scratch 0
		.amdhsa_float_round_mode_32 0
		.amdhsa_float_round_mode_16_64 0
		.amdhsa_float_denorm_mode_32 3
		.amdhsa_float_denorm_mode_16_64 3
		.amdhsa_dx10_clamp 1
		.amdhsa_ieee_mode 1
		.amdhsa_fp16_overflow 0
		.amdhsa_exception_fp_ieee_invalid_op 0
		.amdhsa_exception_fp_denorm_src 0
		.amdhsa_exception_fp_ieee_div_zero 0
		.amdhsa_exception_fp_ieee_overflow 0
		.amdhsa_exception_fp_ieee_underflow 0
		.amdhsa_exception_fp_ieee_inexact 0
		.amdhsa_exception_int_div_zero 0
	.end_amdhsa_kernel
	.section	.text._Z6kernelI14inclusive_scanfLj128ELj64ELj100EEvPKT0_PS1_S1_,"axG",@progbits,_Z6kernelI14inclusive_scanfLj128ELj64ELj100EEvPKT0_PS1_S1_,comdat
.Lfunc_end14:
	.size	_Z6kernelI14inclusive_scanfLj128ELj64ELj100EEvPKT0_PS1_S1_, .Lfunc_end14-_Z6kernelI14inclusive_scanfLj128ELj64ELj100EEvPKT0_PS1_S1_
                                        ; -- End function
	.set _Z6kernelI14inclusive_scanfLj128ELj64ELj100EEvPKT0_PS1_S1_.num_vgpr, 5
	.set _Z6kernelI14inclusive_scanfLj128ELj64ELj100EEvPKT0_PS1_S1_.num_agpr, 0
	.set _Z6kernelI14inclusive_scanfLj128ELj64ELj100EEvPKT0_PS1_S1_.numbered_sgpr, 13
	.set _Z6kernelI14inclusive_scanfLj128ELj64ELj100EEvPKT0_PS1_S1_.num_named_barrier, 0
	.set _Z6kernelI14inclusive_scanfLj128ELj64ELj100EEvPKT0_PS1_S1_.private_seg_size, 0
	.set _Z6kernelI14inclusive_scanfLj128ELj64ELj100EEvPKT0_PS1_S1_.uses_vcc, 1
	.set _Z6kernelI14inclusive_scanfLj128ELj64ELj100EEvPKT0_PS1_S1_.uses_flat_scratch, 0
	.set _Z6kernelI14inclusive_scanfLj128ELj64ELj100EEvPKT0_PS1_S1_.has_dyn_sized_stack, 0
	.set _Z6kernelI14inclusive_scanfLj128ELj64ELj100EEvPKT0_PS1_S1_.has_recursion, 0
	.set _Z6kernelI14inclusive_scanfLj128ELj64ELj100EEvPKT0_PS1_S1_.has_indirect_call, 0
	.section	.AMDGPU.csdata,"",@progbits
; Kernel info:
; codeLenInByte = 312
; TotalNumSgprs: 17
; NumVgprs: 5
; ScratchSize: 0
; MemoryBound: 0
; FloatMode: 240
; IeeeMode: 1
; LDSByteSize: 0 bytes/workgroup (compile time only)
; SGPRBlocks: 2
; VGPRBlocks: 1
; NumSGPRsForWavesPerEU: 17
; NumVGPRsForWavesPerEU: 5
; Occupancy: 10
; WaveLimiterHint : 0
; COMPUTE_PGM_RSRC2:SCRATCH_EN: 0
; COMPUTE_PGM_RSRC2:USER_SGPR: 6
; COMPUTE_PGM_RSRC2:TRAP_HANDLER: 0
; COMPUTE_PGM_RSRC2:TGID_X_EN: 1
; COMPUTE_PGM_RSRC2:TGID_Y_EN: 0
; COMPUTE_PGM_RSRC2:TGID_Z_EN: 0
; COMPUTE_PGM_RSRC2:TIDIG_COMP_CNT: 0
	.section	.text._Z6kernelI14inclusive_scanfLj256ELj64ELj100EEvPKT0_PS1_S1_,"axG",@progbits,_Z6kernelI14inclusive_scanfLj256ELj64ELj100EEvPKT0_PS1_S1_,comdat
	.protected	_Z6kernelI14inclusive_scanfLj256ELj64ELj100EEvPKT0_PS1_S1_ ; -- Begin function _Z6kernelI14inclusive_scanfLj256ELj64ELj100EEvPKT0_PS1_S1_
	.globl	_Z6kernelI14inclusive_scanfLj256ELj64ELj100EEvPKT0_PS1_S1_
	.p2align	8
	.type	_Z6kernelI14inclusive_scanfLj256ELj64ELj100EEvPKT0_PS1_S1_,@function
_Z6kernelI14inclusive_scanfLj256ELj64ELj100EEvPKT0_PS1_S1_: ; @_Z6kernelI14inclusive_scanfLj256ELj64ELj100EEvPKT0_PS1_S1_
; %bb.0:
	s_load_dword s0, s[4:5], 0x24
	s_load_dwordx4 s[8:11], s[4:5], 0x0
	v_mov_b32_e32 v1, 0
	s_movk_i32 s12, 0x64
	s_waitcnt lgkmcnt(0)
	s_and_b32 s0, s0, 0xffff
	s_mul_i32 s6, s6, s0
	v_add_u32_e32 v0, s6, v0
	v_lshlrev_b64 v[0:1], 2, v[0:1]
	v_mov_b32_e32 v3, s9
	v_add_co_u32_e32 v2, vcc, s8, v0
	v_addc_co_u32_e32 v3, vcc, v3, v1, vcc
	global_load_dword v2, v[2:3], off
	v_mbcnt_lo_u32_b32 v3, -1, 0
	v_mbcnt_hi_u32_b32 v3, -1, v3
	v_and_b32_e32 v4, 15, v3
	v_cmp_eq_u32_e32 vcc, 0, v4
	v_cmp_lt_u32_e64 s[0:1], 1, v4
	v_cmp_lt_u32_e64 s[2:3], 3, v4
	;; [unrolled: 1-line block ×3, first 2 shown]
	v_and_b32_e32 v4, 16, v3
	v_cmp_eq_u32_e64 s[6:7], 0, v4
	v_cmp_lt_u32_e64 s[8:9], 31, v3
.LBB15_1:                               ; =>This Inner Loop Header: Depth=1
	s_waitcnt vmcnt(0)
	v_mov_b32_dpp v3, v2 row_shr:1 row_mask:0xf bank_mask:0xf
	v_add_f32_e32 v3, v2, v3
	v_cndmask_b32_e32 v2, v3, v2, vcc
	s_add_i32 s12, s12, -1
	s_cmp_lg_u32 s12, 0
	v_mov_b32_dpp v3, v2 row_shr:2 row_mask:0xf bank_mask:0xf
	v_add_f32_e32 v3, v2, v3
	v_cndmask_b32_e64 v2, v2, v3, s[0:1]
	s_nop 1
	v_mov_b32_dpp v3, v2 row_shr:4 row_mask:0xf bank_mask:0xf
	v_add_f32_e32 v3, v2, v3
	v_cndmask_b32_e64 v2, v2, v3, s[2:3]
	s_nop 1
	;; [unrolled: 4-line block ×3, first 2 shown]
	v_mov_b32_dpp v3, v2 row_bcast:15 row_mask:0xf bank_mask:0xf
	v_add_f32_e32 v3, v2, v3
	v_cndmask_b32_e64 v2, v3, v2, s[6:7]
	s_nop 1
	v_mov_b32_dpp v3, v2 row_bcast:31 row_mask:0xf bank_mask:0xf
	v_add_f32_e32 v3, v2, v3
	v_cndmask_b32_e64 v2, v2, v3, s[8:9]
	s_cbranch_scc1 .LBB15_1
; %bb.2:
	v_mov_b32_e32 v3, s11
	v_add_co_u32_e32 v0, vcc, s10, v0
	v_addc_co_u32_e32 v1, vcc, v3, v1, vcc
	global_store_dword v[0:1], v2, off
	s_endpgm
	.section	.rodata,"a",@progbits
	.p2align	6, 0x0
	.amdhsa_kernel _Z6kernelI14inclusive_scanfLj256ELj64ELj100EEvPKT0_PS1_S1_
		.amdhsa_group_segment_fixed_size 0
		.amdhsa_private_segment_fixed_size 0
		.amdhsa_kernarg_size 280
		.amdhsa_user_sgpr_count 6
		.amdhsa_user_sgpr_private_segment_buffer 1
		.amdhsa_user_sgpr_dispatch_ptr 0
		.amdhsa_user_sgpr_queue_ptr 0
		.amdhsa_user_sgpr_kernarg_segment_ptr 1
		.amdhsa_user_sgpr_dispatch_id 0
		.amdhsa_user_sgpr_flat_scratch_init 0
		.amdhsa_user_sgpr_private_segment_size 0
		.amdhsa_uses_dynamic_stack 0
		.amdhsa_system_sgpr_private_segment_wavefront_offset 0
		.amdhsa_system_sgpr_workgroup_id_x 1
		.amdhsa_system_sgpr_workgroup_id_y 0
		.amdhsa_system_sgpr_workgroup_id_z 0
		.amdhsa_system_sgpr_workgroup_info 0
		.amdhsa_system_vgpr_workitem_id 0
		.amdhsa_next_free_vgpr 5
		.amdhsa_next_free_sgpr 13
		.amdhsa_reserve_vcc 1
		.amdhsa_reserve_flat_scratch 0
		.amdhsa_float_round_mode_32 0
		.amdhsa_float_round_mode_16_64 0
		.amdhsa_float_denorm_mode_32 3
		.amdhsa_float_denorm_mode_16_64 3
		.amdhsa_dx10_clamp 1
		.amdhsa_ieee_mode 1
		.amdhsa_fp16_overflow 0
		.amdhsa_exception_fp_ieee_invalid_op 0
		.amdhsa_exception_fp_denorm_src 0
		.amdhsa_exception_fp_ieee_div_zero 0
		.amdhsa_exception_fp_ieee_overflow 0
		.amdhsa_exception_fp_ieee_underflow 0
		.amdhsa_exception_fp_ieee_inexact 0
		.amdhsa_exception_int_div_zero 0
	.end_amdhsa_kernel
	.section	.text._Z6kernelI14inclusive_scanfLj256ELj64ELj100EEvPKT0_PS1_S1_,"axG",@progbits,_Z6kernelI14inclusive_scanfLj256ELj64ELj100EEvPKT0_PS1_S1_,comdat
.Lfunc_end15:
	.size	_Z6kernelI14inclusive_scanfLj256ELj64ELj100EEvPKT0_PS1_S1_, .Lfunc_end15-_Z6kernelI14inclusive_scanfLj256ELj64ELj100EEvPKT0_PS1_S1_
                                        ; -- End function
	.set _Z6kernelI14inclusive_scanfLj256ELj64ELj100EEvPKT0_PS1_S1_.num_vgpr, 5
	.set _Z6kernelI14inclusive_scanfLj256ELj64ELj100EEvPKT0_PS1_S1_.num_agpr, 0
	.set _Z6kernelI14inclusive_scanfLj256ELj64ELj100EEvPKT0_PS1_S1_.numbered_sgpr, 13
	.set _Z6kernelI14inclusive_scanfLj256ELj64ELj100EEvPKT0_PS1_S1_.num_named_barrier, 0
	.set _Z6kernelI14inclusive_scanfLj256ELj64ELj100EEvPKT0_PS1_S1_.private_seg_size, 0
	.set _Z6kernelI14inclusive_scanfLj256ELj64ELj100EEvPKT0_PS1_S1_.uses_vcc, 1
	.set _Z6kernelI14inclusive_scanfLj256ELj64ELj100EEvPKT0_PS1_S1_.uses_flat_scratch, 0
	.set _Z6kernelI14inclusive_scanfLj256ELj64ELj100EEvPKT0_PS1_S1_.has_dyn_sized_stack, 0
	.set _Z6kernelI14inclusive_scanfLj256ELj64ELj100EEvPKT0_PS1_S1_.has_recursion, 0
	.set _Z6kernelI14inclusive_scanfLj256ELj64ELj100EEvPKT0_PS1_S1_.has_indirect_call, 0
	.section	.AMDGPU.csdata,"",@progbits
; Kernel info:
; codeLenInByte = 312
; TotalNumSgprs: 17
; NumVgprs: 5
; ScratchSize: 0
; MemoryBound: 0
; FloatMode: 240
; IeeeMode: 1
; LDSByteSize: 0 bytes/workgroup (compile time only)
; SGPRBlocks: 2
; VGPRBlocks: 1
; NumSGPRsForWavesPerEU: 17
; NumVGPRsForWavesPerEU: 5
; Occupancy: 10
; WaveLimiterHint : 0
; COMPUTE_PGM_RSRC2:SCRATCH_EN: 0
; COMPUTE_PGM_RSRC2:USER_SGPR: 6
; COMPUTE_PGM_RSRC2:TRAP_HANDLER: 0
; COMPUTE_PGM_RSRC2:TGID_X_EN: 1
; COMPUTE_PGM_RSRC2:TGID_Y_EN: 0
; COMPUTE_PGM_RSRC2:TGID_Z_EN: 0
; COMPUTE_PGM_RSRC2:TIDIG_COMP_CNT: 0
	.section	.text._Z6kernelI14inclusive_scandLj60ELj15ELj100EEvPKT0_PS1_S1_,"axG",@progbits,_Z6kernelI14inclusive_scandLj60ELj15ELj100EEvPKT0_PS1_S1_,comdat
	.protected	_Z6kernelI14inclusive_scandLj60ELj15ELj100EEvPKT0_PS1_S1_ ; -- Begin function _Z6kernelI14inclusive_scandLj60ELj15ELj100EEvPKT0_PS1_S1_
	.globl	_Z6kernelI14inclusive_scandLj60ELj15ELj100EEvPKT0_PS1_S1_
	.p2align	8
	.type	_Z6kernelI14inclusive_scandLj60ELj15ELj100EEvPKT0_PS1_S1_,@function
_Z6kernelI14inclusive_scandLj60ELj15ELj100EEvPKT0_PS1_S1_: ; @_Z6kernelI14inclusive_scandLj60ELj15ELj100EEvPKT0_PS1_S1_
; %bb.0:
	s_load_dword s0, s[4:5], 0x24
	s_load_dwordx4 s[8:11], s[4:5], 0x0
	v_mov_b32_e32 v1, 0
	v_mbcnt_lo_u32_b32 v4, -1, 0
	v_mbcnt_hi_u32_b32 v4, -1, v4
	s_waitcnt lgkmcnt(0)
	s_and_b32 s0, s0, 0xffff
	s_mul_i32 s6, s6, s0
	v_add_u32_e32 v0, s6, v0
	v_lshlrev_b64 v[0:1], 3, v[0:1]
	v_mov_b32_e32 v3, s9
	v_add_co_u32_e32 v2, vcc, s8, v0
	v_addc_co_u32_e32 v3, vcc, v3, v1, vcc
	global_load_dwordx2 v[2:3], v[2:3], off
	s_mov_b32 s0, 0x11111112
	v_mul_hi_u32 v5, v4, s0
	s_movk_i32 s8, 0x64
	v_mul_u32_u24_e32 v5, 15, v5
	v_sub_u32_e32 v5, v4, v5
	v_lshlrev_b32_e32 v4, 3, v5
	v_cmp_ne_u32_e32 vcc, 0, v5
	v_cmp_lt_u32_e64 s[0:1], 1, v5
	v_cmp_lt_u32_e64 s[2:3], 3, v5
	;; [unrolled: 1-line block ×3, first 2 shown]
	v_add_u32_e32 v5, -8, v4
	v_add_u32_e32 v6, -16, v4
	v_subrev_u32_e32 v7, 32, v4
	v_subrev_u32_e32 v8, 64, v4
	s_branch .LBB16_2
.LBB16_1:                               ;   in Loop: Header=BB16_2 Depth=1
	s_or_b64 exec, exec, s[6:7]
	s_add_i32 s8, s8, -1
	s_cmp_lg_u32 s8, 0
	; wave barrier
	s_cbranch_scc0 .LBB16_18
.LBB16_2:                               ; =>This Inner Loop Header: Depth=1
	s_waitcnt vmcnt(0)
	ds_write_b64 v4, v[2:3]
	; wave barrier
	s_and_saveexec_b64 s[6:7], vcc
	s_cbranch_execz .LBB16_4
; %bb.3:                                ;   in Loop: Header=BB16_2 Depth=1
	ds_read_b64 v[9:10], v5
	s_waitcnt lgkmcnt(0)
	v_add_f64 v[2:3], v[2:3], v[9:10]
.LBB16_4:                               ;   in Loop: Header=BB16_2 Depth=1
	s_or_b64 exec, exec, s[6:7]
	; wave barrier
	s_and_saveexec_b64 s[6:7], vcc
; %bb.5:                                ;   in Loop: Header=BB16_2 Depth=1
	ds_write_b64 v4, v[2:3]
; %bb.6:                                ;   in Loop: Header=BB16_2 Depth=1
	s_or_b64 exec, exec, s[6:7]
	; wave barrier
	s_and_saveexec_b64 s[6:7], s[0:1]
	s_cbranch_execz .LBB16_8
; %bb.7:                                ;   in Loop: Header=BB16_2 Depth=1
	ds_read_b64 v[9:10], v6
	s_waitcnt lgkmcnt(0)
	v_add_f64 v[2:3], v[2:3], v[9:10]
.LBB16_8:                               ;   in Loop: Header=BB16_2 Depth=1
	s_or_b64 exec, exec, s[6:7]
	; wave barrier
	s_and_saveexec_b64 s[6:7], s[0:1]
; %bb.9:                                ;   in Loop: Header=BB16_2 Depth=1
	ds_write_b64 v4, v[2:3]
; %bb.10:                               ;   in Loop: Header=BB16_2 Depth=1
	s_or_b64 exec, exec, s[6:7]
	; wave barrier
	s_and_saveexec_b64 s[6:7], s[2:3]
	s_cbranch_execz .LBB16_12
; %bb.11:                               ;   in Loop: Header=BB16_2 Depth=1
	ds_read_b64 v[9:10], v7
	s_waitcnt lgkmcnt(0)
	v_add_f64 v[2:3], v[2:3], v[9:10]
.LBB16_12:                              ;   in Loop: Header=BB16_2 Depth=1
	s_or_b64 exec, exec, s[6:7]
	; wave barrier
	s_and_saveexec_b64 s[6:7], s[2:3]
; %bb.13:                               ;   in Loop: Header=BB16_2 Depth=1
	ds_write_b64 v4, v[2:3]
; %bb.14:                               ;   in Loop: Header=BB16_2 Depth=1
	s_or_b64 exec, exec, s[6:7]
	; wave barrier
	s_and_saveexec_b64 s[6:7], s[4:5]
	s_cbranch_execz .LBB16_16
; %bb.15:                               ;   in Loop: Header=BB16_2 Depth=1
	ds_read_b64 v[9:10], v8
	s_waitcnt lgkmcnt(0)
	v_add_f64 v[2:3], v[2:3], v[9:10]
.LBB16_16:                              ;   in Loop: Header=BB16_2 Depth=1
	s_or_b64 exec, exec, s[6:7]
	; wave barrier
	s_and_saveexec_b64 s[6:7], s[4:5]
	s_cbranch_execz .LBB16_1
; %bb.17:                               ;   in Loop: Header=BB16_2 Depth=1
	ds_write_b64 v4, v[2:3]
	s_branch .LBB16_1
.LBB16_18:
	v_mov_b32_e32 v4, s11
	v_add_co_u32_e32 v0, vcc, s10, v0
	v_addc_co_u32_e32 v1, vcc, v4, v1, vcc
	global_store_dwordx2 v[0:1], v[2:3], off
	s_endpgm
	.section	.rodata,"a",@progbits
	.p2align	6, 0x0
	.amdhsa_kernel _Z6kernelI14inclusive_scandLj60ELj15ELj100EEvPKT0_PS1_S1_
		.amdhsa_group_segment_fixed_size 120
		.amdhsa_private_segment_fixed_size 0
		.amdhsa_kernarg_size 280
		.amdhsa_user_sgpr_count 6
		.amdhsa_user_sgpr_private_segment_buffer 1
		.amdhsa_user_sgpr_dispatch_ptr 0
		.amdhsa_user_sgpr_queue_ptr 0
		.amdhsa_user_sgpr_kernarg_segment_ptr 1
		.amdhsa_user_sgpr_dispatch_id 0
		.amdhsa_user_sgpr_flat_scratch_init 0
		.amdhsa_user_sgpr_private_segment_size 0
		.amdhsa_uses_dynamic_stack 0
		.amdhsa_system_sgpr_private_segment_wavefront_offset 0
		.amdhsa_system_sgpr_workgroup_id_x 1
		.amdhsa_system_sgpr_workgroup_id_y 0
		.amdhsa_system_sgpr_workgroup_id_z 0
		.amdhsa_system_sgpr_workgroup_info 0
		.amdhsa_system_vgpr_workitem_id 0
		.amdhsa_next_free_vgpr 11
		.amdhsa_next_free_sgpr 12
		.amdhsa_reserve_vcc 1
		.amdhsa_reserve_flat_scratch 0
		.amdhsa_float_round_mode_32 0
		.amdhsa_float_round_mode_16_64 0
		.amdhsa_float_denorm_mode_32 3
		.amdhsa_float_denorm_mode_16_64 3
		.amdhsa_dx10_clamp 1
		.amdhsa_ieee_mode 1
		.amdhsa_fp16_overflow 0
		.amdhsa_exception_fp_ieee_invalid_op 0
		.amdhsa_exception_fp_denorm_src 0
		.amdhsa_exception_fp_ieee_div_zero 0
		.amdhsa_exception_fp_ieee_overflow 0
		.amdhsa_exception_fp_ieee_underflow 0
		.amdhsa_exception_fp_ieee_inexact 0
		.amdhsa_exception_int_div_zero 0
	.end_amdhsa_kernel
	.section	.text._Z6kernelI14inclusive_scandLj60ELj15ELj100EEvPKT0_PS1_S1_,"axG",@progbits,_Z6kernelI14inclusive_scandLj60ELj15ELj100EEvPKT0_PS1_S1_,comdat
.Lfunc_end16:
	.size	_Z6kernelI14inclusive_scandLj60ELj15ELj100EEvPKT0_PS1_S1_, .Lfunc_end16-_Z6kernelI14inclusive_scandLj60ELj15ELj100EEvPKT0_PS1_S1_
                                        ; -- End function
	.set _Z6kernelI14inclusive_scandLj60ELj15ELj100EEvPKT0_PS1_S1_.num_vgpr, 11
	.set _Z6kernelI14inclusive_scandLj60ELj15ELj100EEvPKT0_PS1_S1_.num_agpr, 0
	.set _Z6kernelI14inclusive_scandLj60ELj15ELj100EEvPKT0_PS1_S1_.numbered_sgpr, 12
	.set _Z6kernelI14inclusive_scandLj60ELj15ELj100EEvPKT0_PS1_S1_.num_named_barrier, 0
	.set _Z6kernelI14inclusive_scandLj60ELj15ELj100EEvPKT0_PS1_S1_.private_seg_size, 0
	.set _Z6kernelI14inclusive_scandLj60ELj15ELj100EEvPKT0_PS1_S1_.uses_vcc, 1
	.set _Z6kernelI14inclusive_scandLj60ELj15ELj100EEvPKT0_PS1_S1_.uses_flat_scratch, 0
	.set _Z6kernelI14inclusive_scandLj60ELj15ELj100EEvPKT0_PS1_S1_.has_dyn_sized_stack, 0
	.set _Z6kernelI14inclusive_scandLj60ELj15ELj100EEvPKT0_PS1_S1_.has_recursion, 0
	.set _Z6kernelI14inclusive_scandLj60ELj15ELj100EEvPKT0_PS1_S1_.has_indirect_call, 0
	.section	.AMDGPU.csdata,"",@progbits
; Kernel info:
; codeLenInByte = 412
; TotalNumSgprs: 16
; NumVgprs: 11
; ScratchSize: 0
; MemoryBound: 0
; FloatMode: 240
; IeeeMode: 1
; LDSByteSize: 120 bytes/workgroup (compile time only)
; SGPRBlocks: 1
; VGPRBlocks: 2
; NumSGPRsForWavesPerEU: 16
; NumVGPRsForWavesPerEU: 11
; Occupancy: 10
; WaveLimiterHint : 0
; COMPUTE_PGM_RSRC2:SCRATCH_EN: 0
; COMPUTE_PGM_RSRC2:USER_SGPR: 6
; COMPUTE_PGM_RSRC2:TRAP_HANDLER: 0
; COMPUTE_PGM_RSRC2:TGID_X_EN: 1
; COMPUTE_PGM_RSRC2:TGID_Y_EN: 0
; COMPUTE_PGM_RSRC2:TGID_Z_EN: 0
; COMPUTE_PGM_RSRC2:TIDIG_COMP_CNT: 0
	.section	.text._Z6kernelI14inclusive_scandLj256ELj16ELj100EEvPKT0_PS1_S1_,"axG",@progbits,_Z6kernelI14inclusive_scandLj256ELj16ELj100EEvPKT0_PS1_S1_,comdat
	.protected	_Z6kernelI14inclusive_scandLj256ELj16ELj100EEvPKT0_PS1_S1_ ; -- Begin function _Z6kernelI14inclusive_scandLj256ELj16ELj100EEvPKT0_PS1_S1_
	.globl	_Z6kernelI14inclusive_scandLj256ELj16ELj100EEvPKT0_PS1_S1_
	.p2align	8
	.type	_Z6kernelI14inclusive_scandLj256ELj16ELj100EEvPKT0_PS1_S1_,@function
_Z6kernelI14inclusive_scandLj256ELj16ELj100EEvPKT0_PS1_S1_: ; @_Z6kernelI14inclusive_scandLj256ELj16ELj100EEvPKT0_PS1_S1_
; %bb.0:
	s_load_dword s0, s[4:5], 0x24
	s_load_dwordx4 s[8:11], s[4:5], 0x0
	v_mov_b32_e32 v1, 0
	v_mbcnt_lo_u32_b32 v4, -1, 0
	v_mbcnt_hi_u32_b32 v4, -1, v4
	s_waitcnt lgkmcnt(0)
	s_and_b32 s0, s0, 0xffff
	s_mul_i32 s6, s6, s0
	v_add_u32_e32 v0, s6, v0
	v_lshlrev_b64 v[0:1], 3, v[0:1]
	v_mov_b32_e32 v3, s9
	v_add_co_u32_e32 v2, vcc, s8, v0
	v_addc_co_u32_e32 v3, vcc, v3, v1, vcc
	global_load_dwordx2 v[2:3], v[2:3], off
	v_and_b32_e32 v4, 15, v4
	v_cmp_ne_u32_e32 vcc, 0, v4
	v_cmp_lt_u32_e64 s[0:1], 1, v4
	v_cmp_lt_u32_e64 s[2:3], 3, v4
	v_cmp_lt_u32_e64 s[4:5], 7, v4
	s_movk_i32 s8, 0x64
	s_branch .LBB17_2
.LBB17_1:                               ;   in Loop: Header=BB17_2 Depth=1
	s_or_b64 exec, exec, s[6:7]
	v_mov_b32_dpp v4, v2 row_shr:8 row_mask:0xf bank_mask:0xf
	v_mov_b32_dpp v5, v3 row_shr:8 row_mask:0xf bank_mask:0xf
	v_add_f64 v[4:5], v[2:3], v[4:5]
	s_add_i32 s8, s8, -1
	s_cmp_lg_u32 s8, 0
	v_cndmask_b32_e64 v3, v3, v5, s[4:5]
	v_cndmask_b32_e64 v2, v2, v4, s[4:5]
	s_cbranch_scc0 .LBB17_8
.LBB17_2:                               ; =>This Inner Loop Header: Depth=1
	s_waitcnt vmcnt(0)
	v_mov_b32_dpp v4, v2 row_shr:1 row_mask:0xf bank_mask:0xf
	v_mov_b32_dpp v5, v3 row_shr:1 row_mask:0xf bank_mask:0xf
	s_and_saveexec_b64 s[6:7], vcc
; %bb.3:                                ;   in Loop: Header=BB17_2 Depth=1
	v_add_f64 v[2:3], v[2:3], v[4:5]
; %bb.4:                                ;   in Loop: Header=BB17_2 Depth=1
	s_or_b64 exec, exec, s[6:7]
	s_nop 0
	v_mov_b32_dpp v4, v2 row_shr:2 row_mask:0xf bank_mask:0xf
	v_mov_b32_dpp v5, v3 row_shr:2 row_mask:0xf bank_mask:0xf
	s_and_saveexec_b64 s[6:7], s[0:1]
; %bb.5:                                ;   in Loop: Header=BB17_2 Depth=1
	v_add_f64 v[2:3], v[2:3], v[4:5]
; %bb.6:                                ;   in Loop: Header=BB17_2 Depth=1
	s_or_b64 exec, exec, s[6:7]
	s_nop 0
	v_mov_b32_dpp v4, v2 row_shr:4 row_mask:0xf bank_mask:0xf
	v_mov_b32_dpp v5, v3 row_shr:4 row_mask:0xf bank_mask:0xf
	s_and_saveexec_b64 s[6:7], s[2:3]
	s_cbranch_execz .LBB17_1
; %bb.7:                                ;   in Loop: Header=BB17_2 Depth=1
	v_add_f64 v[2:3], v[2:3], v[4:5]
	s_branch .LBB17_1
.LBB17_8:
	v_mov_b32_e32 v4, s11
	v_add_co_u32_e32 v0, vcc, s10, v0
	v_addc_co_u32_e32 v1, vcc, v4, v1, vcc
	global_store_dwordx2 v[0:1], v[2:3], off
	s_endpgm
	.section	.rodata,"a",@progbits
	.p2align	6, 0x0
	.amdhsa_kernel _Z6kernelI14inclusive_scandLj256ELj16ELj100EEvPKT0_PS1_S1_
		.amdhsa_group_segment_fixed_size 0
		.amdhsa_private_segment_fixed_size 0
		.amdhsa_kernarg_size 280
		.amdhsa_user_sgpr_count 6
		.amdhsa_user_sgpr_private_segment_buffer 1
		.amdhsa_user_sgpr_dispatch_ptr 0
		.amdhsa_user_sgpr_queue_ptr 0
		.amdhsa_user_sgpr_kernarg_segment_ptr 1
		.amdhsa_user_sgpr_dispatch_id 0
		.amdhsa_user_sgpr_flat_scratch_init 0
		.amdhsa_user_sgpr_private_segment_size 0
		.amdhsa_uses_dynamic_stack 0
		.amdhsa_system_sgpr_private_segment_wavefront_offset 0
		.amdhsa_system_sgpr_workgroup_id_x 1
		.amdhsa_system_sgpr_workgroup_id_y 0
		.amdhsa_system_sgpr_workgroup_id_z 0
		.amdhsa_system_sgpr_workgroup_info 0
		.amdhsa_system_vgpr_workitem_id 0
		.amdhsa_next_free_vgpr 6
		.amdhsa_next_free_sgpr 12
		.amdhsa_reserve_vcc 1
		.amdhsa_reserve_flat_scratch 0
		.amdhsa_float_round_mode_32 0
		.amdhsa_float_round_mode_16_64 0
		.amdhsa_float_denorm_mode_32 3
		.amdhsa_float_denorm_mode_16_64 3
		.amdhsa_dx10_clamp 1
		.amdhsa_ieee_mode 1
		.amdhsa_fp16_overflow 0
		.amdhsa_exception_fp_ieee_invalid_op 0
		.amdhsa_exception_fp_denorm_src 0
		.amdhsa_exception_fp_ieee_div_zero 0
		.amdhsa_exception_fp_ieee_overflow 0
		.amdhsa_exception_fp_ieee_underflow 0
		.amdhsa_exception_fp_ieee_inexact 0
		.amdhsa_exception_int_div_zero 0
	.end_amdhsa_kernel
	.section	.text._Z6kernelI14inclusive_scandLj256ELj16ELj100EEvPKT0_PS1_S1_,"axG",@progbits,_Z6kernelI14inclusive_scandLj256ELj16ELj100EEvPKT0_PS1_S1_,comdat
.Lfunc_end17:
	.size	_Z6kernelI14inclusive_scandLj256ELj16ELj100EEvPKT0_PS1_S1_, .Lfunc_end17-_Z6kernelI14inclusive_scandLj256ELj16ELj100EEvPKT0_PS1_S1_
                                        ; -- End function
	.set _Z6kernelI14inclusive_scandLj256ELj16ELj100EEvPKT0_PS1_S1_.num_vgpr, 6
	.set _Z6kernelI14inclusive_scandLj256ELj16ELj100EEvPKT0_PS1_S1_.num_agpr, 0
	.set _Z6kernelI14inclusive_scandLj256ELj16ELj100EEvPKT0_PS1_S1_.numbered_sgpr, 12
	.set _Z6kernelI14inclusive_scandLj256ELj16ELj100EEvPKT0_PS1_S1_.num_named_barrier, 0
	.set _Z6kernelI14inclusive_scandLj256ELj16ELj100EEvPKT0_PS1_S1_.private_seg_size, 0
	.set _Z6kernelI14inclusive_scandLj256ELj16ELj100EEvPKT0_PS1_S1_.uses_vcc, 1
	.set _Z6kernelI14inclusive_scandLj256ELj16ELj100EEvPKT0_PS1_S1_.uses_flat_scratch, 0
	.set _Z6kernelI14inclusive_scandLj256ELj16ELj100EEvPKT0_PS1_S1_.has_dyn_sized_stack, 0
	.set _Z6kernelI14inclusive_scandLj256ELj16ELj100EEvPKT0_PS1_S1_.has_recursion, 0
	.set _Z6kernelI14inclusive_scandLj256ELj16ELj100EEvPKT0_PS1_S1_.has_indirect_call, 0
	.section	.AMDGPU.csdata,"",@progbits
; Kernel info:
; codeLenInByte = 316
; TotalNumSgprs: 16
; NumVgprs: 6
; ScratchSize: 0
; MemoryBound: 0
; FloatMode: 240
; IeeeMode: 1
; LDSByteSize: 0 bytes/workgroup (compile time only)
; SGPRBlocks: 1
; VGPRBlocks: 1
; NumSGPRsForWavesPerEU: 16
; NumVGPRsForWavesPerEU: 6
; Occupancy: 10
; WaveLimiterHint : 0
; COMPUTE_PGM_RSRC2:SCRATCH_EN: 0
; COMPUTE_PGM_RSRC2:USER_SGPR: 6
; COMPUTE_PGM_RSRC2:TRAP_HANDLER: 0
; COMPUTE_PGM_RSRC2:TGID_X_EN: 1
; COMPUTE_PGM_RSRC2:TGID_Y_EN: 0
; COMPUTE_PGM_RSRC2:TGID_Z_EN: 0
; COMPUTE_PGM_RSRC2:TIDIG_COMP_CNT: 0
	.section	.text._Z6kernelI14inclusive_scandLj62ELj31ELj100EEvPKT0_PS1_S1_,"axG",@progbits,_Z6kernelI14inclusive_scandLj62ELj31ELj100EEvPKT0_PS1_S1_,comdat
	.protected	_Z6kernelI14inclusive_scandLj62ELj31ELj100EEvPKT0_PS1_S1_ ; -- Begin function _Z6kernelI14inclusive_scandLj62ELj31ELj100EEvPKT0_PS1_S1_
	.globl	_Z6kernelI14inclusive_scandLj62ELj31ELj100EEvPKT0_PS1_S1_
	.p2align	8
	.type	_Z6kernelI14inclusive_scandLj62ELj31ELj100EEvPKT0_PS1_S1_,@function
_Z6kernelI14inclusive_scandLj62ELj31ELj100EEvPKT0_PS1_S1_: ; @_Z6kernelI14inclusive_scandLj62ELj31ELj100EEvPKT0_PS1_S1_
; %bb.0:
	s_load_dword s0, s[4:5], 0x24
	s_load_dwordx4 s[8:11], s[4:5], 0x0
	v_mov_b32_e32 v1, 0
	v_mbcnt_lo_u32_b32 v4, -1, 0
	v_mbcnt_hi_u32_b32 v4, -1, v4
	s_waitcnt lgkmcnt(0)
	s_and_b32 s0, s0, 0xffff
	s_mul_i32 s6, s6, s0
	v_add_u32_e32 v0, s6, v0
	v_lshlrev_b64 v[0:1], 3, v[0:1]
	v_mov_b32_e32 v3, s9
	v_add_co_u32_e32 v2, vcc, s8, v0
	v_addc_co_u32_e32 v3, vcc, v3, v1, vcc
	global_load_dwordx2 v[2:3], v[2:3], off
	s_mov_b32 s0, 0x8421085
	v_mul_hi_u32 v5, v4, s0
	s_movk_i32 s12, 0x64
	v_mul_u32_u24_e32 v5, 31, v5
	v_sub_u32_e32 v5, v4, v5
	v_lshlrev_b32_e32 v4, 3, v5
	v_cmp_ne_u32_e32 vcc, 0, v5
	v_cmp_lt_u32_e64 s[0:1], 1, v5
	v_cmp_lt_u32_e64 s[2:3], 3, v5
	;; [unrolled: 1-line block ×4, first 2 shown]
	v_add_u32_e32 v5, -8, v4
	v_add_u32_e32 v6, -16, v4
	v_subrev_u32_e32 v7, 32, v4
	v_subrev_u32_e32 v8, 64, v4
	v_add_u32_e32 v9, 0xffffff80, v4
	s_branch .LBB18_2
.LBB18_1:                               ;   in Loop: Header=BB18_2 Depth=1
	s_or_b64 exec, exec, s[8:9]
	s_add_i32 s12, s12, -1
	s_cmp_lg_u32 s12, 0
	; wave barrier
	s_cbranch_scc0 .LBB18_22
.LBB18_2:                               ; =>This Inner Loop Header: Depth=1
	s_waitcnt vmcnt(0)
	ds_write_b64 v4, v[2:3]
	; wave barrier
	s_and_saveexec_b64 s[8:9], vcc
	s_cbranch_execz .LBB18_4
; %bb.3:                                ;   in Loop: Header=BB18_2 Depth=1
	ds_read_b64 v[10:11], v5
	s_waitcnt lgkmcnt(0)
	v_add_f64 v[2:3], v[2:3], v[10:11]
.LBB18_4:                               ;   in Loop: Header=BB18_2 Depth=1
	s_or_b64 exec, exec, s[8:9]
	; wave barrier
	s_and_saveexec_b64 s[8:9], vcc
; %bb.5:                                ;   in Loop: Header=BB18_2 Depth=1
	ds_write_b64 v4, v[2:3]
; %bb.6:                                ;   in Loop: Header=BB18_2 Depth=1
	s_or_b64 exec, exec, s[8:9]
	; wave barrier
	s_and_saveexec_b64 s[8:9], s[0:1]
	s_cbranch_execz .LBB18_8
; %bb.7:                                ;   in Loop: Header=BB18_2 Depth=1
	ds_read_b64 v[10:11], v6
	s_waitcnt lgkmcnt(0)
	v_add_f64 v[2:3], v[2:3], v[10:11]
.LBB18_8:                               ;   in Loop: Header=BB18_2 Depth=1
	s_or_b64 exec, exec, s[8:9]
	; wave barrier
	s_and_saveexec_b64 s[8:9], s[0:1]
; %bb.9:                                ;   in Loop: Header=BB18_2 Depth=1
	ds_write_b64 v4, v[2:3]
; %bb.10:                               ;   in Loop: Header=BB18_2 Depth=1
	s_or_b64 exec, exec, s[8:9]
	; wave barrier
	s_and_saveexec_b64 s[8:9], s[2:3]
	s_cbranch_execz .LBB18_12
; %bb.11:                               ;   in Loop: Header=BB18_2 Depth=1
	ds_read_b64 v[10:11], v7
	s_waitcnt lgkmcnt(0)
	v_add_f64 v[2:3], v[2:3], v[10:11]
.LBB18_12:                              ;   in Loop: Header=BB18_2 Depth=1
	s_or_b64 exec, exec, s[8:9]
	; wave barrier
	s_and_saveexec_b64 s[8:9], s[2:3]
; %bb.13:                               ;   in Loop: Header=BB18_2 Depth=1
	ds_write_b64 v4, v[2:3]
; %bb.14:                               ;   in Loop: Header=BB18_2 Depth=1
	s_or_b64 exec, exec, s[8:9]
	; wave barrier
	s_and_saveexec_b64 s[8:9], s[4:5]
	s_cbranch_execz .LBB18_16
; %bb.15:                               ;   in Loop: Header=BB18_2 Depth=1
	ds_read_b64 v[10:11], v8
	s_waitcnt lgkmcnt(0)
	v_add_f64 v[2:3], v[2:3], v[10:11]
.LBB18_16:                              ;   in Loop: Header=BB18_2 Depth=1
	s_or_b64 exec, exec, s[8:9]
	; wave barrier
	s_and_saveexec_b64 s[8:9], s[4:5]
; %bb.17:                               ;   in Loop: Header=BB18_2 Depth=1
	ds_write_b64 v4, v[2:3]
; %bb.18:                               ;   in Loop: Header=BB18_2 Depth=1
	s_or_b64 exec, exec, s[8:9]
	; wave barrier
	s_and_saveexec_b64 s[8:9], s[6:7]
	s_cbranch_execz .LBB18_20
; %bb.19:                               ;   in Loop: Header=BB18_2 Depth=1
	ds_read_b64 v[10:11], v9
	s_waitcnt lgkmcnt(0)
	v_add_f64 v[2:3], v[2:3], v[10:11]
.LBB18_20:                              ;   in Loop: Header=BB18_2 Depth=1
	s_or_b64 exec, exec, s[8:9]
	; wave barrier
	s_and_saveexec_b64 s[8:9], s[6:7]
	s_cbranch_execz .LBB18_1
; %bb.21:                               ;   in Loop: Header=BB18_2 Depth=1
	ds_write_b64 v4, v[2:3]
	s_branch .LBB18_1
.LBB18_22:
	v_mov_b32_e32 v4, s11
	v_add_co_u32_e32 v0, vcc, s10, v0
	v_addc_co_u32_e32 v1, vcc, v4, v1, vcc
	global_store_dwordx2 v[0:1], v[2:3], off
	s_endpgm
	.section	.rodata,"a",@progbits
	.p2align	6, 0x0
	.amdhsa_kernel _Z6kernelI14inclusive_scandLj62ELj31ELj100EEvPKT0_PS1_S1_
		.amdhsa_group_segment_fixed_size 248
		.amdhsa_private_segment_fixed_size 0
		.amdhsa_kernarg_size 280
		.amdhsa_user_sgpr_count 6
		.amdhsa_user_sgpr_private_segment_buffer 1
		.amdhsa_user_sgpr_dispatch_ptr 0
		.amdhsa_user_sgpr_queue_ptr 0
		.amdhsa_user_sgpr_kernarg_segment_ptr 1
		.amdhsa_user_sgpr_dispatch_id 0
		.amdhsa_user_sgpr_flat_scratch_init 0
		.amdhsa_user_sgpr_private_segment_size 0
		.amdhsa_uses_dynamic_stack 0
		.amdhsa_system_sgpr_private_segment_wavefront_offset 0
		.amdhsa_system_sgpr_workgroup_id_x 1
		.amdhsa_system_sgpr_workgroup_id_y 0
		.amdhsa_system_sgpr_workgroup_id_z 0
		.amdhsa_system_sgpr_workgroup_info 0
		.amdhsa_system_vgpr_workitem_id 0
		.amdhsa_next_free_vgpr 12
		.amdhsa_next_free_sgpr 13
		.amdhsa_reserve_vcc 1
		.amdhsa_reserve_flat_scratch 0
		.amdhsa_float_round_mode_32 0
		.amdhsa_float_round_mode_16_64 0
		.amdhsa_float_denorm_mode_32 3
		.amdhsa_float_denorm_mode_16_64 3
		.amdhsa_dx10_clamp 1
		.amdhsa_ieee_mode 1
		.amdhsa_fp16_overflow 0
		.amdhsa_exception_fp_ieee_invalid_op 0
		.amdhsa_exception_fp_denorm_src 0
		.amdhsa_exception_fp_ieee_div_zero 0
		.amdhsa_exception_fp_ieee_overflow 0
		.amdhsa_exception_fp_ieee_underflow 0
		.amdhsa_exception_fp_ieee_inexact 0
		.amdhsa_exception_int_div_zero 0
	.end_amdhsa_kernel
	.section	.text._Z6kernelI14inclusive_scandLj62ELj31ELj100EEvPKT0_PS1_S1_,"axG",@progbits,_Z6kernelI14inclusive_scandLj62ELj31ELj100EEvPKT0_PS1_S1_,comdat
.Lfunc_end18:
	.size	_Z6kernelI14inclusive_scandLj62ELj31ELj100EEvPKT0_PS1_S1_, .Lfunc_end18-_Z6kernelI14inclusive_scandLj62ELj31ELj100EEvPKT0_PS1_S1_
                                        ; -- End function
	.set _Z6kernelI14inclusive_scandLj62ELj31ELj100EEvPKT0_PS1_S1_.num_vgpr, 12
	.set _Z6kernelI14inclusive_scandLj62ELj31ELj100EEvPKT0_PS1_S1_.num_agpr, 0
	.set _Z6kernelI14inclusive_scandLj62ELj31ELj100EEvPKT0_PS1_S1_.numbered_sgpr, 13
	.set _Z6kernelI14inclusive_scandLj62ELj31ELj100EEvPKT0_PS1_S1_.num_named_barrier, 0
	.set _Z6kernelI14inclusive_scandLj62ELj31ELj100EEvPKT0_PS1_S1_.private_seg_size, 0
	.set _Z6kernelI14inclusive_scandLj62ELj31ELj100EEvPKT0_PS1_S1_.uses_vcc, 1
	.set _Z6kernelI14inclusive_scandLj62ELj31ELj100EEvPKT0_PS1_S1_.uses_flat_scratch, 0
	.set _Z6kernelI14inclusive_scandLj62ELj31ELj100EEvPKT0_PS1_S1_.has_dyn_sized_stack, 0
	.set _Z6kernelI14inclusive_scandLj62ELj31ELj100EEvPKT0_PS1_S1_.has_recursion, 0
	.set _Z6kernelI14inclusive_scandLj62ELj31ELj100EEvPKT0_PS1_S1_.has_indirect_call, 0
	.section	.AMDGPU.csdata,"",@progbits
; Kernel info:
; codeLenInByte = 476
; TotalNumSgprs: 17
; NumVgprs: 12
; ScratchSize: 0
; MemoryBound: 0
; FloatMode: 240
; IeeeMode: 1
; LDSByteSize: 248 bytes/workgroup (compile time only)
; SGPRBlocks: 2
; VGPRBlocks: 2
; NumSGPRsForWavesPerEU: 17
; NumVGPRsForWavesPerEU: 12
; Occupancy: 10
; WaveLimiterHint : 0
; COMPUTE_PGM_RSRC2:SCRATCH_EN: 0
; COMPUTE_PGM_RSRC2:USER_SGPR: 6
; COMPUTE_PGM_RSRC2:TRAP_HANDLER: 0
; COMPUTE_PGM_RSRC2:TGID_X_EN: 1
; COMPUTE_PGM_RSRC2:TGID_Y_EN: 0
; COMPUTE_PGM_RSRC2:TGID_Z_EN: 0
; COMPUTE_PGM_RSRC2:TIDIG_COMP_CNT: 0
	.section	.text._Z6kernelI14inclusive_scandLj256ELj32ELj100EEvPKT0_PS1_S1_,"axG",@progbits,_Z6kernelI14inclusive_scandLj256ELj32ELj100EEvPKT0_PS1_S1_,comdat
	.protected	_Z6kernelI14inclusive_scandLj256ELj32ELj100EEvPKT0_PS1_S1_ ; -- Begin function _Z6kernelI14inclusive_scandLj256ELj32ELj100EEvPKT0_PS1_S1_
	.globl	_Z6kernelI14inclusive_scandLj256ELj32ELj100EEvPKT0_PS1_S1_
	.p2align	8
	.type	_Z6kernelI14inclusive_scandLj256ELj32ELj100EEvPKT0_PS1_S1_,@function
_Z6kernelI14inclusive_scandLj256ELj32ELj100EEvPKT0_PS1_S1_: ; @_Z6kernelI14inclusive_scandLj256ELj32ELj100EEvPKT0_PS1_S1_
; %bb.0:
	s_load_dword s0, s[4:5], 0x24
	s_load_dwordx4 s[8:11], s[4:5], 0x0
	v_mov_b32_e32 v1, 0
	v_mbcnt_lo_u32_b32 v4, -1, 0
	v_mbcnt_hi_u32_b32 v4, -1, v4
	s_waitcnt lgkmcnt(0)
	s_and_b32 s0, s0, 0xffff
	s_mul_i32 s6, s6, s0
	v_add_u32_e32 v0, s6, v0
	v_lshlrev_b64 v[0:1], 3, v[0:1]
	v_mov_b32_e32 v3, s9
	v_add_co_u32_e32 v2, vcc, s8, v0
	v_addc_co_u32_e32 v3, vcc, v3, v1, vcc
	global_load_dwordx2 v[2:3], v[2:3], off
	v_and_b32_e32 v5, 15, v4
	v_and_b32_e32 v4, 16, v4
	v_cmp_ne_u32_e32 vcc, 0, v5
	v_cmp_lt_u32_e64 s[0:1], 1, v5
	v_cmp_lt_u32_e64 s[2:3], 3, v5
	;; [unrolled: 1-line block ×3, first 2 shown]
	v_cmp_eq_u32_e64 s[6:7], 0, v4
	s_movk_i32 s12, 0x64
	s_branch .LBB19_2
.LBB19_1:                               ;   in Loop: Header=BB19_2 Depth=1
	s_or_b64 exec, exec, s[8:9]
	v_mov_b32_dpp v4, v2 row_bcast:15 row_mask:0xf bank_mask:0xf
	v_mov_b32_dpp v5, v3 row_bcast:15 row_mask:0xf bank_mask:0xf
	v_add_f64 v[4:5], v[2:3], v[4:5]
	s_add_i32 s12, s12, -1
	s_cmp_lg_u32 s12, 0
	v_cndmask_b32_e64 v3, v5, v3, s[6:7]
	v_cndmask_b32_e64 v2, v4, v2, s[6:7]
	s_cbranch_scc0 .LBB19_10
.LBB19_2:                               ; =>This Inner Loop Header: Depth=1
	s_waitcnt vmcnt(0)
	v_mov_b32_dpp v4, v2 row_shr:1 row_mask:0xf bank_mask:0xf
	v_mov_b32_dpp v5, v3 row_shr:1 row_mask:0xf bank_mask:0xf
	s_and_saveexec_b64 s[8:9], vcc
; %bb.3:                                ;   in Loop: Header=BB19_2 Depth=1
	v_add_f64 v[2:3], v[2:3], v[4:5]
; %bb.4:                                ;   in Loop: Header=BB19_2 Depth=1
	s_or_b64 exec, exec, s[8:9]
	s_nop 0
	v_mov_b32_dpp v4, v2 row_shr:2 row_mask:0xf bank_mask:0xf
	v_mov_b32_dpp v5, v3 row_shr:2 row_mask:0xf bank_mask:0xf
	s_and_saveexec_b64 s[8:9], s[0:1]
; %bb.5:                                ;   in Loop: Header=BB19_2 Depth=1
	v_add_f64 v[2:3], v[2:3], v[4:5]
; %bb.6:                                ;   in Loop: Header=BB19_2 Depth=1
	s_or_b64 exec, exec, s[8:9]
	s_nop 0
	v_mov_b32_dpp v4, v2 row_shr:4 row_mask:0xf bank_mask:0xf
	v_mov_b32_dpp v5, v3 row_shr:4 row_mask:0xf bank_mask:0xf
	s_and_saveexec_b64 s[8:9], s[2:3]
; %bb.7:                                ;   in Loop: Header=BB19_2 Depth=1
	v_add_f64 v[2:3], v[2:3], v[4:5]
; %bb.8:                                ;   in Loop: Header=BB19_2 Depth=1
	s_or_b64 exec, exec, s[8:9]
	s_nop 0
	v_mov_b32_dpp v4, v2 row_shr:8 row_mask:0xf bank_mask:0xf
	v_mov_b32_dpp v5, v3 row_shr:8 row_mask:0xf bank_mask:0xf
	s_and_saveexec_b64 s[8:9], s[4:5]
	s_cbranch_execz .LBB19_1
; %bb.9:                                ;   in Loop: Header=BB19_2 Depth=1
	v_add_f64 v[2:3], v[2:3], v[4:5]
	s_branch .LBB19_1
.LBB19_10:
	v_mov_b32_e32 v4, s11
	v_add_co_u32_e32 v0, vcc, s10, v0
	v_addc_co_u32_e32 v1, vcc, v4, v1, vcc
	global_store_dwordx2 v[0:1], v[2:3], off
	s_endpgm
	.section	.rodata,"a",@progbits
	.p2align	6, 0x0
	.amdhsa_kernel _Z6kernelI14inclusive_scandLj256ELj32ELj100EEvPKT0_PS1_S1_
		.amdhsa_group_segment_fixed_size 0
		.amdhsa_private_segment_fixed_size 0
		.amdhsa_kernarg_size 280
		.amdhsa_user_sgpr_count 6
		.amdhsa_user_sgpr_private_segment_buffer 1
		.amdhsa_user_sgpr_dispatch_ptr 0
		.amdhsa_user_sgpr_queue_ptr 0
		.amdhsa_user_sgpr_kernarg_segment_ptr 1
		.amdhsa_user_sgpr_dispatch_id 0
		.amdhsa_user_sgpr_flat_scratch_init 0
		.amdhsa_user_sgpr_private_segment_size 0
		.amdhsa_uses_dynamic_stack 0
		.amdhsa_system_sgpr_private_segment_wavefront_offset 0
		.amdhsa_system_sgpr_workgroup_id_x 1
		.amdhsa_system_sgpr_workgroup_id_y 0
		.amdhsa_system_sgpr_workgroup_id_z 0
		.amdhsa_system_sgpr_workgroup_info 0
		.amdhsa_system_vgpr_workitem_id 0
		.amdhsa_next_free_vgpr 6
		.amdhsa_next_free_sgpr 13
		.amdhsa_reserve_vcc 1
		.amdhsa_reserve_flat_scratch 0
		.amdhsa_float_round_mode_32 0
		.amdhsa_float_round_mode_16_64 0
		.amdhsa_float_denorm_mode_32 3
		.amdhsa_float_denorm_mode_16_64 3
		.amdhsa_dx10_clamp 1
		.amdhsa_ieee_mode 1
		.amdhsa_fp16_overflow 0
		.amdhsa_exception_fp_ieee_invalid_op 0
		.amdhsa_exception_fp_denorm_src 0
		.amdhsa_exception_fp_ieee_div_zero 0
		.amdhsa_exception_fp_ieee_overflow 0
		.amdhsa_exception_fp_ieee_underflow 0
		.amdhsa_exception_fp_ieee_inexact 0
		.amdhsa_exception_int_div_zero 0
	.end_amdhsa_kernel
	.section	.text._Z6kernelI14inclusive_scandLj256ELj32ELj100EEvPKT0_PS1_S1_,"axG",@progbits,_Z6kernelI14inclusive_scandLj256ELj32ELj100EEvPKT0_PS1_S1_,comdat
.Lfunc_end19:
	.size	_Z6kernelI14inclusive_scandLj256ELj32ELj100EEvPKT0_PS1_S1_, .Lfunc_end19-_Z6kernelI14inclusive_scandLj256ELj32ELj100EEvPKT0_PS1_S1_
                                        ; -- End function
	.set _Z6kernelI14inclusive_scandLj256ELj32ELj100EEvPKT0_PS1_S1_.num_vgpr, 6
	.set _Z6kernelI14inclusive_scandLj256ELj32ELj100EEvPKT0_PS1_S1_.num_agpr, 0
	.set _Z6kernelI14inclusive_scandLj256ELj32ELj100EEvPKT0_PS1_S1_.numbered_sgpr, 13
	.set _Z6kernelI14inclusive_scandLj256ELj32ELj100EEvPKT0_PS1_S1_.num_named_barrier, 0
	.set _Z6kernelI14inclusive_scandLj256ELj32ELj100EEvPKT0_PS1_S1_.private_seg_size, 0
	.set _Z6kernelI14inclusive_scandLj256ELj32ELj100EEvPKT0_PS1_S1_.uses_vcc, 1
	.set _Z6kernelI14inclusive_scandLj256ELj32ELj100EEvPKT0_PS1_S1_.uses_flat_scratch, 0
	.set _Z6kernelI14inclusive_scandLj256ELj32ELj100EEvPKT0_PS1_S1_.has_dyn_sized_stack, 0
	.set _Z6kernelI14inclusive_scandLj256ELj32ELj100EEvPKT0_PS1_S1_.has_recursion, 0
	.set _Z6kernelI14inclusive_scandLj256ELj32ELj100EEvPKT0_PS1_S1_.has_indirect_call, 0
	.section	.AMDGPU.csdata,"",@progbits
; Kernel info:
; codeLenInByte = 364
; TotalNumSgprs: 17
; NumVgprs: 6
; ScratchSize: 0
; MemoryBound: 0
; FloatMode: 240
; IeeeMode: 1
; LDSByteSize: 0 bytes/workgroup (compile time only)
; SGPRBlocks: 2
; VGPRBlocks: 1
; NumSGPRsForWavesPerEU: 17
; NumVGPRsForWavesPerEU: 6
; Occupancy: 10
; WaveLimiterHint : 0
; COMPUTE_PGM_RSRC2:SCRATCH_EN: 0
; COMPUTE_PGM_RSRC2:USER_SGPR: 6
; COMPUTE_PGM_RSRC2:TRAP_HANDLER: 0
; COMPUTE_PGM_RSRC2:TGID_X_EN: 1
; COMPUTE_PGM_RSRC2:TGID_Y_EN: 0
; COMPUTE_PGM_RSRC2:TGID_Z_EN: 0
; COMPUTE_PGM_RSRC2:TIDIG_COMP_CNT: 0
	.section	.text._Z6kernelI14inclusive_scandLj63ELj63ELj100EEvPKT0_PS1_S1_,"axG",@progbits,_Z6kernelI14inclusive_scandLj63ELj63ELj100EEvPKT0_PS1_S1_,comdat
	.protected	_Z6kernelI14inclusive_scandLj63ELj63ELj100EEvPKT0_PS1_S1_ ; -- Begin function _Z6kernelI14inclusive_scandLj63ELj63ELj100EEvPKT0_PS1_S1_
	.globl	_Z6kernelI14inclusive_scandLj63ELj63ELj100EEvPKT0_PS1_S1_
	.p2align	8
	.type	_Z6kernelI14inclusive_scandLj63ELj63ELj100EEvPKT0_PS1_S1_,@function
_Z6kernelI14inclusive_scandLj63ELj63ELj100EEvPKT0_PS1_S1_: ; @_Z6kernelI14inclusive_scandLj63ELj63ELj100EEvPKT0_PS1_S1_
; %bb.0:
	s_load_dword s0, s[4:5], 0x24
	s_load_dwordx4 s[8:11], s[4:5], 0x0
	v_mov_b32_e32 v1, 0
	v_mbcnt_lo_u32_b32 v4, -1, 0
	v_mbcnt_hi_u32_b32 v4, -1, v4
	s_waitcnt lgkmcnt(0)
	s_and_b32 s0, s0, 0xffff
	s_mul_i32 s6, s6, s0
	v_add_u32_e32 v0, s6, v0
	v_lshlrev_b64 v[0:1], 3, v[0:1]
	v_mov_b32_e32 v3, s9
	v_add_co_u32_e32 v2, vcc, s8, v0
	v_addc_co_u32_e32 v3, vcc, v3, v1, vcc
	global_load_dwordx2 v[2:3], v[2:3], off
	s_mov_b32 s0, 0x4104105
	v_mul_hi_u32 v5, v4, s0
	s_movk_i32 s14, 0x64
	v_mul_u32_u24_e32 v5, 63, v5
	v_sub_u32_e32 v5, v4, v5
	v_lshlrev_b32_e32 v4, 3, v5
	v_cmp_ne_u32_e32 vcc, 0, v5
	v_cmp_lt_u32_e64 s[0:1], 1, v5
	v_cmp_lt_u32_e64 s[2:3], 3, v5
	v_cmp_lt_u32_e64 s[4:5], 7, v5
	v_cmp_lt_u32_e64 s[6:7], 15, v5
	v_cmp_lt_u32_e64 s[8:9], 31, v5
	v_add_u32_e32 v5, -8, v4
	v_add_u32_e32 v6, -16, v4
	v_subrev_u32_e32 v7, 32, v4
	v_subrev_u32_e32 v8, 64, v4
	v_add_u32_e32 v9, 0xffffff80, v4
	v_add_u32_e32 v10, 0xffffff00, v4
	s_branch .LBB20_2
.LBB20_1:                               ;   in Loop: Header=BB20_2 Depth=1
	s_or_b64 exec, exec, s[12:13]
	s_add_i32 s14, s14, -1
	s_cmp_lg_u32 s14, 0
	; wave barrier
	s_cbranch_scc0 .LBB20_26
.LBB20_2:                               ; =>This Inner Loop Header: Depth=1
	s_waitcnt vmcnt(0)
	ds_write_b64 v4, v[2:3]
	; wave barrier
	s_and_saveexec_b64 s[12:13], vcc
	s_cbranch_execz .LBB20_4
; %bb.3:                                ;   in Loop: Header=BB20_2 Depth=1
	ds_read_b64 v[11:12], v5
	s_waitcnt lgkmcnt(0)
	v_add_f64 v[2:3], v[2:3], v[11:12]
.LBB20_4:                               ;   in Loop: Header=BB20_2 Depth=1
	s_or_b64 exec, exec, s[12:13]
	; wave barrier
	s_and_saveexec_b64 s[12:13], vcc
; %bb.5:                                ;   in Loop: Header=BB20_2 Depth=1
	ds_write_b64 v4, v[2:3]
; %bb.6:                                ;   in Loop: Header=BB20_2 Depth=1
	s_or_b64 exec, exec, s[12:13]
	; wave barrier
	s_and_saveexec_b64 s[12:13], s[0:1]
	s_cbranch_execz .LBB20_8
; %bb.7:                                ;   in Loop: Header=BB20_2 Depth=1
	ds_read_b64 v[11:12], v6
	s_waitcnt lgkmcnt(0)
	v_add_f64 v[2:3], v[2:3], v[11:12]
.LBB20_8:                               ;   in Loop: Header=BB20_2 Depth=1
	s_or_b64 exec, exec, s[12:13]
	; wave barrier
	s_and_saveexec_b64 s[12:13], s[0:1]
; %bb.9:                                ;   in Loop: Header=BB20_2 Depth=1
	ds_write_b64 v4, v[2:3]
; %bb.10:                               ;   in Loop: Header=BB20_2 Depth=1
	s_or_b64 exec, exec, s[12:13]
	; wave barrier
	s_and_saveexec_b64 s[12:13], s[2:3]
	s_cbranch_execz .LBB20_12
; %bb.11:                               ;   in Loop: Header=BB20_2 Depth=1
	ds_read_b64 v[11:12], v7
	s_waitcnt lgkmcnt(0)
	v_add_f64 v[2:3], v[2:3], v[11:12]
.LBB20_12:                              ;   in Loop: Header=BB20_2 Depth=1
	s_or_b64 exec, exec, s[12:13]
	; wave barrier
	s_and_saveexec_b64 s[12:13], s[2:3]
; %bb.13:                               ;   in Loop: Header=BB20_2 Depth=1
	ds_write_b64 v4, v[2:3]
; %bb.14:                               ;   in Loop: Header=BB20_2 Depth=1
	s_or_b64 exec, exec, s[12:13]
	; wave barrier
	s_and_saveexec_b64 s[12:13], s[4:5]
	s_cbranch_execz .LBB20_16
; %bb.15:                               ;   in Loop: Header=BB20_2 Depth=1
	ds_read_b64 v[11:12], v8
	s_waitcnt lgkmcnt(0)
	v_add_f64 v[2:3], v[2:3], v[11:12]
.LBB20_16:                              ;   in Loop: Header=BB20_2 Depth=1
	s_or_b64 exec, exec, s[12:13]
	; wave barrier
	s_and_saveexec_b64 s[12:13], s[4:5]
; %bb.17:                               ;   in Loop: Header=BB20_2 Depth=1
	;; [unrolled: 15-line block ×3, first 2 shown]
	ds_write_b64 v4, v[2:3]
; %bb.22:                               ;   in Loop: Header=BB20_2 Depth=1
	s_or_b64 exec, exec, s[12:13]
	; wave barrier
	s_and_saveexec_b64 s[12:13], s[8:9]
	s_cbranch_execz .LBB20_24
; %bb.23:                               ;   in Loop: Header=BB20_2 Depth=1
	ds_read_b64 v[11:12], v10
	s_waitcnt lgkmcnt(0)
	v_add_f64 v[2:3], v[2:3], v[11:12]
.LBB20_24:                              ;   in Loop: Header=BB20_2 Depth=1
	s_or_b64 exec, exec, s[12:13]
	; wave barrier
	s_and_saveexec_b64 s[12:13], s[8:9]
	s_cbranch_execz .LBB20_1
; %bb.25:                               ;   in Loop: Header=BB20_2 Depth=1
	ds_write_b64 v4, v[2:3]
	s_branch .LBB20_1
.LBB20_26:
	v_mov_b32_e32 v4, s11
	v_add_co_u32_e32 v0, vcc, s10, v0
	v_addc_co_u32_e32 v1, vcc, v4, v1, vcc
	global_store_dwordx2 v[0:1], v[2:3], off
	s_endpgm
	.section	.rodata,"a",@progbits
	.p2align	6, 0x0
	.amdhsa_kernel _Z6kernelI14inclusive_scandLj63ELj63ELj100EEvPKT0_PS1_S1_
		.amdhsa_group_segment_fixed_size 504
		.amdhsa_private_segment_fixed_size 0
		.amdhsa_kernarg_size 280
		.amdhsa_user_sgpr_count 6
		.amdhsa_user_sgpr_private_segment_buffer 1
		.amdhsa_user_sgpr_dispatch_ptr 0
		.amdhsa_user_sgpr_queue_ptr 0
		.amdhsa_user_sgpr_kernarg_segment_ptr 1
		.amdhsa_user_sgpr_dispatch_id 0
		.amdhsa_user_sgpr_flat_scratch_init 0
		.amdhsa_user_sgpr_private_segment_size 0
		.amdhsa_uses_dynamic_stack 0
		.amdhsa_system_sgpr_private_segment_wavefront_offset 0
		.amdhsa_system_sgpr_workgroup_id_x 1
		.amdhsa_system_sgpr_workgroup_id_y 0
		.amdhsa_system_sgpr_workgroup_id_z 0
		.amdhsa_system_sgpr_workgroup_info 0
		.amdhsa_system_vgpr_workitem_id 0
		.amdhsa_next_free_vgpr 13
		.amdhsa_next_free_sgpr 15
		.amdhsa_reserve_vcc 1
		.amdhsa_reserve_flat_scratch 0
		.amdhsa_float_round_mode_32 0
		.amdhsa_float_round_mode_16_64 0
		.amdhsa_float_denorm_mode_32 3
		.amdhsa_float_denorm_mode_16_64 3
		.amdhsa_dx10_clamp 1
		.amdhsa_ieee_mode 1
		.amdhsa_fp16_overflow 0
		.amdhsa_exception_fp_ieee_invalid_op 0
		.amdhsa_exception_fp_denorm_src 0
		.amdhsa_exception_fp_ieee_div_zero 0
		.amdhsa_exception_fp_ieee_overflow 0
		.amdhsa_exception_fp_ieee_underflow 0
		.amdhsa_exception_fp_ieee_inexact 0
		.amdhsa_exception_int_div_zero 0
	.end_amdhsa_kernel
	.section	.text._Z6kernelI14inclusive_scandLj63ELj63ELj100EEvPKT0_PS1_S1_,"axG",@progbits,_Z6kernelI14inclusive_scandLj63ELj63ELj100EEvPKT0_PS1_S1_,comdat
.Lfunc_end20:
	.size	_Z6kernelI14inclusive_scandLj63ELj63ELj100EEvPKT0_PS1_S1_, .Lfunc_end20-_Z6kernelI14inclusive_scandLj63ELj63ELj100EEvPKT0_PS1_S1_
                                        ; -- End function
	.set _Z6kernelI14inclusive_scandLj63ELj63ELj100EEvPKT0_PS1_S1_.num_vgpr, 13
	.set _Z6kernelI14inclusive_scandLj63ELj63ELj100EEvPKT0_PS1_S1_.num_agpr, 0
	.set _Z6kernelI14inclusive_scandLj63ELj63ELj100EEvPKT0_PS1_S1_.numbered_sgpr, 15
	.set _Z6kernelI14inclusive_scandLj63ELj63ELj100EEvPKT0_PS1_S1_.num_named_barrier, 0
	.set _Z6kernelI14inclusive_scandLj63ELj63ELj100EEvPKT0_PS1_S1_.private_seg_size, 0
	.set _Z6kernelI14inclusive_scandLj63ELj63ELj100EEvPKT0_PS1_S1_.uses_vcc, 1
	.set _Z6kernelI14inclusive_scandLj63ELj63ELj100EEvPKT0_PS1_S1_.uses_flat_scratch, 0
	.set _Z6kernelI14inclusive_scandLj63ELj63ELj100EEvPKT0_PS1_S1_.has_dyn_sized_stack, 0
	.set _Z6kernelI14inclusive_scandLj63ELj63ELj100EEvPKT0_PS1_S1_.has_recursion, 0
	.set _Z6kernelI14inclusive_scandLj63ELj63ELj100EEvPKT0_PS1_S1_.has_indirect_call, 0
	.section	.AMDGPU.csdata,"",@progbits
; Kernel info:
; codeLenInByte = 540
; TotalNumSgprs: 19
; NumVgprs: 13
; ScratchSize: 0
; MemoryBound: 0
; FloatMode: 240
; IeeeMode: 1
; LDSByteSize: 504 bytes/workgroup (compile time only)
; SGPRBlocks: 2
; VGPRBlocks: 3
; NumSGPRsForWavesPerEU: 19
; NumVGPRsForWavesPerEU: 13
; Occupancy: 10
; WaveLimiterHint : 0
; COMPUTE_PGM_RSRC2:SCRATCH_EN: 0
; COMPUTE_PGM_RSRC2:USER_SGPR: 6
; COMPUTE_PGM_RSRC2:TRAP_HANDLER: 0
; COMPUTE_PGM_RSRC2:TGID_X_EN: 1
; COMPUTE_PGM_RSRC2:TGID_Y_EN: 0
; COMPUTE_PGM_RSRC2:TGID_Z_EN: 0
; COMPUTE_PGM_RSRC2:TIDIG_COMP_CNT: 0
	.section	.text._Z6kernelI14inclusive_scandLj64ELj64ELj100EEvPKT0_PS1_S1_,"axG",@progbits,_Z6kernelI14inclusive_scandLj64ELj64ELj100EEvPKT0_PS1_S1_,comdat
	.protected	_Z6kernelI14inclusive_scandLj64ELj64ELj100EEvPKT0_PS1_S1_ ; -- Begin function _Z6kernelI14inclusive_scandLj64ELj64ELj100EEvPKT0_PS1_S1_
	.globl	_Z6kernelI14inclusive_scandLj64ELj64ELj100EEvPKT0_PS1_S1_
	.p2align	8
	.type	_Z6kernelI14inclusive_scandLj64ELj64ELj100EEvPKT0_PS1_S1_,@function
_Z6kernelI14inclusive_scandLj64ELj64ELj100EEvPKT0_PS1_S1_: ; @_Z6kernelI14inclusive_scandLj64ELj64ELj100EEvPKT0_PS1_S1_
; %bb.0:
	s_load_dword s0, s[4:5], 0x24
	s_load_dwordx4 s[8:11], s[4:5], 0x0
	v_mov_b32_e32 v1, 0
	v_mbcnt_lo_u32_b32 v4, -1, 0
	v_mbcnt_hi_u32_b32 v4, -1, v4
	s_waitcnt lgkmcnt(0)
	s_and_b32 s0, s0, 0xffff
	s_mul_i32 s6, s6, s0
	v_add_u32_e32 v0, s6, v0
	v_lshlrev_b64 v[0:1], 3, v[0:1]
	v_mov_b32_e32 v3, s9
	v_add_co_u32_e32 v2, vcc, s8, v0
	v_addc_co_u32_e32 v3, vcc, v3, v1, vcc
	global_load_dwordx2 v[2:3], v[2:3], off
	v_and_b32_e32 v5, 15, v4
	v_cmp_ne_u32_e32 vcc, 0, v5
	v_cmp_lt_u32_e64 s[0:1], 1, v5
	v_cmp_lt_u32_e64 s[2:3], 3, v5
	;; [unrolled: 1-line block ×3, first 2 shown]
	v_and_b32_e32 v5, 16, v4
	v_cmp_ne_u32_e64 s[6:7], 0, v5
	v_cmp_lt_u32_e64 s[8:9], 31, v4
	s_movk_i32 s14, 0x64
	s_branch .LBB21_2
.LBB21_1:                               ;   in Loop: Header=BB21_2 Depth=1
	s_or_b64 exec, exec, s[12:13]
	v_mov_b32_dpp v4, v2 row_bcast:31 row_mask:0xf bank_mask:0xf
	v_mov_b32_dpp v5, v3 row_bcast:31 row_mask:0xf bank_mask:0xf
	v_add_f64 v[4:5], v[2:3], v[4:5]
	s_add_i32 s14, s14, -1
	s_cmp_lg_u32 s14, 0
	v_cndmask_b32_e64 v3, v3, v5, s[8:9]
	v_cndmask_b32_e64 v2, v2, v4, s[8:9]
	s_cbranch_scc0 .LBB21_12
.LBB21_2:                               ; =>This Inner Loop Header: Depth=1
	s_waitcnt vmcnt(0)
	v_mov_b32_dpp v4, v2 row_shr:1 row_mask:0xf bank_mask:0xf
	v_mov_b32_dpp v5, v3 row_shr:1 row_mask:0xf bank_mask:0xf
	s_and_saveexec_b64 s[12:13], vcc
; %bb.3:                                ;   in Loop: Header=BB21_2 Depth=1
	v_add_f64 v[2:3], v[2:3], v[4:5]
; %bb.4:                                ;   in Loop: Header=BB21_2 Depth=1
	s_or_b64 exec, exec, s[12:13]
	s_nop 0
	v_mov_b32_dpp v4, v2 row_shr:2 row_mask:0xf bank_mask:0xf
	v_mov_b32_dpp v5, v3 row_shr:2 row_mask:0xf bank_mask:0xf
	s_and_saveexec_b64 s[12:13], s[0:1]
; %bb.5:                                ;   in Loop: Header=BB21_2 Depth=1
	v_add_f64 v[2:3], v[2:3], v[4:5]
; %bb.6:                                ;   in Loop: Header=BB21_2 Depth=1
	s_or_b64 exec, exec, s[12:13]
	s_nop 0
	v_mov_b32_dpp v4, v2 row_shr:4 row_mask:0xf bank_mask:0xf
	v_mov_b32_dpp v5, v3 row_shr:4 row_mask:0xf bank_mask:0xf
	s_and_saveexec_b64 s[12:13], s[2:3]
	;; [unrolled: 8-line block ×3, first 2 shown]
; %bb.9:                                ;   in Loop: Header=BB21_2 Depth=1
	v_add_f64 v[2:3], v[2:3], v[4:5]
; %bb.10:                               ;   in Loop: Header=BB21_2 Depth=1
	s_or_b64 exec, exec, s[12:13]
	s_nop 0
	v_mov_b32_dpp v4, v2 row_bcast:15 row_mask:0xf bank_mask:0xf
	v_mov_b32_dpp v5, v3 row_bcast:15 row_mask:0xf bank_mask:0xf
	s_and_saveexec_b64 s[12:13], s[6:7]
	s_cbranch_execz .LBB21_1
; %bb.11:                               ;   in Loop: Header=BB21_2 Depth=1
	v_add_f64 v[2:3], v[2:3], v[4:5]
	s_branch .LBB21_1
.LBB21_12:
	v_mov_b32_e32 v4, s11
	v_add_co_u32_e32 v0, vcc, s10, v0
	v_addc_co_u32_e32 v1, vcc, v4, v1, vcc
	global_store_dwordx2 v[0:1], v[2:3], off
	s_endpgm
	.section	.rodata,"a",@progbits
	.p2align	6, 0x0
	.amdhsa_kernel _Z6kernelI14inclusive_scandLj64ELj64ELj100EEvPKT0_PS1_S1_
		.amdhsa_group_segment_fixed_size 0
		.amdhsa_private_segment_fixed_size 0
		.amdhsa_kernarg_size 280
		.amdhsa_user_sgpr_count 6
		.amdhsa_user_sgpr_private_segment_buffer 1
		.amdhsa_user_sgpr_dispatch_ptr 0
		.amdhsa_user_sgpr_queue_ptr 0
		.amdhsa_user_sgpr_kernarg_segment_ptr 1
		.amdhsa_user_sgpr_dispatch_id 0
		.amdhsa_user_sgpr_flat_scratch_init 0
		.amdhsa_user_sgpr_private_segment_size 0
		.amdhsa_uses_dynamic_stack 0
		.amdhsa_system_sgpr_private_segment_wavefront_offset 0
		.amdhsa_system_sgpr_workgroup_id_x 1
		.amdhsa_system_sgpr_workgroup_id_y 0
		.amdhsa_system_sgpr_workgroup_id_z 0
		.amdhsa_system_sgpr_workgroup_info 0
		.amdhsa_system_vgpr_workitem_id 0
		.amdhsa_next_free_vgpr 6
		.amdhsa_next_free_sgpr 15
		.amdhsa_reserve_vcc 1
		.amdhsa_reserve_flat_scratch 0
		.amdhsa_float_round_mode_32 0
		.amdhsa_float_round_mode_16_64 0
		.amdhsa_float_denorm_mode_32 3
		.amdhsa_float_denorm_mode_16_64 3
		.amdhsa_dx10_clamp 1
		.amdhsa_ieee_mode 1
		.amdhsa_fp16_overflow 0
		.amdhsa_exception_fp_ieee_invalid_op 0
		.amdhsa_exception_fp_denorm_src 0
		.amdhsa_exception_fp_ieee_div_zero 0
		.amdhsa_exception_fp_ieee_overflow 0
		.amdhsa_exception_fp_ieee_underflow 0
		.amdhsa_exception_fp_ieee_inexact 0
		.amdhsa_exception_int_div_zero 0
	.end_amdhsa_kernel
	.section	.text._Z6kernelI14inclusive_scandLj64ELj64ELj100EEvPKT0_PS1_S1_,"axG",@progbits,_Z6kernelI14inclusive_scandLj64ELj64ELj100EEvPKT0_PS1_S1_,comdat
.Lfunc_end21:
	.size	_Z6kernelI14inclusive_scandLj64ELj64ELj100EEvPKT0_PS1_S1_, .Lfunc_end21-_Z6kernelI14inclusive_scandLj64ELj64ELj100EEvPKT0_PS1_S1_
                                        ; -- End function
	.set _Z6kernelI14inclusive_scandLj64ELj64ELj100EEvPKT0_PS1_S1_.num_vgpr, 6
	.set _Z6kernelI14inclusive_scandLj64ELj64ELj100EEvPKT0_PS1_S1_.num_agpr, 0
	.set _Z6kernelI14inclusive_scandLj64ELj64ELj100EEvPKT0_PS1_S1_.numbered_sgpr, 15
	.set _Z6kernelI14inclusive_scandLj64ELj64ELj100EEvPKT0_PS1_S1_.num_named_barrier, 0
	.set _Z6kernelI14inclusive_scandLj64ELj64ELj100EEvPKT0_PS1_S1_.private_seg_size, 0
	.set _Z6kernelI14inclusive_scandLj64ELj64ELj100EEvPKT0_PS1_S1_.uses_vcc, 1
	.set _Z6kernelI14inclusive_scandLj64ELj64ELj100EEvPKT0_PS1_S1_.uses_flat_scratch, 0
	.set _Z6kernelI14inclusive_scandLj64ELj64ELj100EEvPKT0_PS1_S1_.has_dyn_sized_stack, 0
	.set _Z6kernelI14inclusive_scandLj64ELj64ELj100EEvPKT0_PS1_S1_.has_recursion, 0
	.set _Z6kernelI14inclusive_scandLj64ELj64ELj100EEvPKT0_PS1_S1_.has_indirect_call, 0
	.section	.AMDGPU.csdata,"",@progbits
; Kernel info:
; codeLenInByte = 408
; TotalNumSgprs: 19
; NumVgprs: 6
; ScratchSize: 0
; MemoryBound: 0
; FloatMode: 240
; IeeeMode: 1
; LDSByteSize: 0 bytes/workgroup (compile time only)
; SGPRBlocks: 2
; VGPRBlocks: 1
; NumSGPRsForWavesPerEU: 19
; NumVGPRsForWavesPerEU: 6
; Occupancy: 10
; WaveLimiterHint : 0
; COMPUTE_PGM_RSRC2:SCRATCH_EN: 0
; COMPUTE_PGM_RSRC2:USER_SGPR: 6
; COMPUTE_PGM_RSRC2:TRAP_HANDLER: 0
; COMPUTE_PGM_RSRC2:TGID_X_EN: 1
; COMPUTE_PGM_RSRC2:TGID_Y_EN: 0
; COMPUTE_PGM_RSRC2:TGID_Z_EN: 0
; COMPUTE_PGM_RSRC2:TIDIG_COMP_CNT: 0
	.section	.text._Z6kernelI14inclusive_scandLj128ELj64ELj100EEvPKT0_PS1_S1_,"axG",@progbits,_Z6kernelI14inclusive_scandLj128ELj64ELj100EEvPKT0_PS1_S1_,comdat
	.protected	_Z6kernelI14inclusive_scandLj128ELj64ELj100EEvPKT0_PS1_S1_ ; -- Begin function _Z6kernelI14inclusive_scandLj128ELj64ELj100EEvPKT0_PS1_S1_
	.globl	_Z6kernelI14inclusive_scandLj128ELj64ELj100EEvPKT0_PS1_S1_
	.p2align	8
	.type	_Z6kernelI14inclusive_scandLj128ELj64ELj100EEvPKT0_PS1_S1_,@function
_Z6kernelI14inclusive_scandLj128ELj64ELj100EEvPKT0_PS1_S1_: ; @_Z6kernelI14inclusive_scandLj128ELj64ELj100EEvPKT0_PS1_S1_
; %bb.0:
	s_load_dword s0, s[4:5], 0x24
	s_load_dwordx4 s[8:11], s[4:5], 0x0
	v_mov_b32_e32 v1, 0
	v_mbcnt_lo_u32_b32 v4, -1, 0
	v_mbcnt_hi_u32_b32 v4, -1, v4
	s_waitcnt lgkmcnt(0)
	s_and_b32 s0, s0, 0xffff
	s_mul_i32 s6, s6, s0
	v_add_u32_e32 v0, s6, v0
	v_lshlrev_b64 v[0:1], 3, v[0:1]
	v_mov_b32_e32 v3, s9
	v_add_co_u32_e32 v2, vcc, s8, v0
	v_addc_co_u32_e32 v3, vcc, v3, v1, vcc
	global_load_dwordx2 v[2:3], v[2:3], off
	v_and_b32_e32 v5, 15, v4
	v_cmp_ne_u32_e32 vcc, 0, v5
	v_cmp_lt_u32_e64 s[0:1], 1, v5
	v_cmp_lt_u32_e64 s[2:3], 3, v5
	;; [unrolled: 1-line block ×3, first 2 shown]
	v_and_b32_e32 v5, 16, v4
	v_cmp_ne_u32_e64 s[6:7], 0, v5
	v_cmp_lt_u32_e64 s[8:9], 31, v4
	s_movk_i32 s14, 0x64
	s_branch .LBB22_2
.LBB22_1:                               ;   in Loop: Header=BB22_2 Depth=1
	s_or_b64 exec, exec, s[12:13]
	v_mov_b32_dpp v4, v2 row_bcast:31 row_mask:0xf bank_mask:0xf
	v_mov_b32_dpp v5, v3 row_bcast:31 row_mask:0xf bank_mask:0xf
	v_add_f64 v[4:5], v[2:3], v[4:5]
	s_add_i32 s14, s14, -1
	s_cmp_lg_u32 s14, 0
	v_cndmask_b32_e64 v3, v3, v5, s[8:9]
	v_cndmask_b32_e64 v2, v2, v4, s[8:9]
	s_cbranch_scc0 .LBB22_12
.LBB22_2:                               ; =>This Inner Loop Header: Depth=1
	s_waitcnt vmcnt(0)
	v_mov_b32_dpp v4, v2 row_shr:1 row_mask:0xf bank_mask:0xf
	v_mov_b32_dpp v5, v3 row_shr:1 row_mask:0xf bank_mask:0xf
	s_and_saveexec_b64 s[12:13], vcc
; %bb.3:                                ;   in Loop: Header=BB22_2 Depth=1
	v_add_f64 v[2:3], v[2:3], v[4:5]
; %bb.4:                                ;   in Loop: Header=BB22_2 Depth=1
	s_or_b64 exec, exec, s[12:13]
	s_nop 0
	v_mov_b32_dpp v4, v2 row_shr:2 row_mask:0xf bank_mask:0xf
	v_mov_b32_dpp v5, v3 row_shr:2 row_mask:0xf bank_mask:0xf
	s_and_saveexec_b64 s[12:13], s[0:1]
; %bb.5:                                ;   in Loop: Header=BB22_2 Depth=1
	v_add_f64 v[2:3], v[2:3], v[4:5]
; %bb.6:                                ;   in Loop: Header=BB22_2 Depth=1
	s_or_b64 exec, exec, s[12:13]
	s_nop 0
	v_mov_b32_dpp v4, v2 row_shr:4 row_mask:0xf bank_mask:0xf
	v_mov_b32_dpp v5, v3 row_shr:4 row_mask:0xf bank_mask:0xf
	s_and_saveexec_b64 s[12:13], s[2:3]
	;; [unrolled: 8-line block ×3, first 2 shown]
; %bb.9:                                ;   in Loop: Header=BB22_2 Depth=1
	v_add_f64 v[2:3], v[2:3], v[4:5]
; %bb.10:                               ;   in Loop: Header=BB22_2 Depth=1
	s_or_b64 exec, exec, s[12:13]
	s_nop 0
	v_mov_b32_dpp v4, v2 row_bcast:15 row_mask:0xf bank_mask:0xf
	v_mov_b32_dpp v5, v3 row_bcast:15 row_mask:0xf bank_mask:0xf
	s_and_saveexec_b64 s[12:13], s[6:7]
	s_cbranch_execz .LBB22_1
; %bb.11:                               ;   in Loop: Header=BB22_2 Depth=1
	v_add_f64 v[2:3], v[2:3], v[4:5]
	s_branch .LBB22_1
.LBB22_12:
	v_mov_b32_e32 v4, s11
	v_add_co_u32_e32 v0, vcc, s10, v0
	v_addc_co_u32_e32 v1, vcc, v4, v1, vcc
	global_store_dwordx2 v[0:1], v[2:3], off
	s_endpgm
	.section	.rodata,"a",@progbits
	.p2align	6, 0x0
	.amdhsa_kernel _Z6kernelI14inclusive_scandLj128ELj64ELj100EEvPKT0_PS1_S1_
		.amdhsa_group_segment_fixed_size 0
		.amdhsa_private_segment_fixed_size 0
		.amdhsa_kernarg_size 280
		.amdhsa_user_sgpr_count 6
		.amdhsa_user_sgpr_private_segment_buffer 1
		.amdhsa_user_sgpr_dispatch_ptr 0
		.amdhsa_user_sgpr_queue_ptr 0
		.amdhsa_user_sgpr_kernarg_segment_ptr 1
		.amdhsa_user_sgpr_dispatch_id 0
		.amdhsa_user_sgpr_flat_scratch_init 0
		.amdhsa_user_sgpr_private_segment_size 0
		.amdhsa_uses_dynamic_stack 0
		.amdhsa_system_sgpr_private_segment_wavefront_offset 0
		.amdhsa_system_sgpr_workgroup_id_x 1
		.amdhsa_system_sgpr_workgroup_id_y 0
		.amdhsa_system_sgpr_workgroup_id_z 0
		.amdhsa_system_sgpr_workgroup_info 0
		.amdhsa_system_vgpr_workitem_id 0
		.amdhsa_next_free_vgpr 6
		.amdhsa_next_free_sgpr 15
		.amdhsa_reserve_vcc 1
		.amdhsa_reserve_flat_scratch 0
		.amdhsa_float_round_mode_32 0
		.amdhsa_float_round_mode_16_64 0
		.amdhsa_float_denorm_mode_32 3
		.amdhsa_float_denorm_mode_16_64 3
		.amdhsa_dx10_clamp 1
		.amdhsa_ieee_mode 1
		.amdhsa_fp16_overflow 0
		.amdhsa_exception_fp_ieee_invalid_op 0
		.amdhsa_exception_fp_denorm_src 0
		.amdhsa_exception_fp_ieee_div_zero 0
		.amdhsa_exception_fp_ieee_overflow 0
		.amdhsa_exception_fp_ieee_underflow 0
		.amdhsa_exception_fp_ieee_inexact 0
		.amdhsa_exception_int_div_zero 0
	.end_amdhsa_kernel
	.section	.text._Z6kernelI14inclusive_scandLj128ELj64ELj100EEvPKT0_PS1_S1_,"axG",@progbits,_Z6kernelI14inclusive_scandLj128ELj64ELj100EEvPKT0_PS1_S1_,comdat
.Lfunc_end22:
	.size	_Z6kernelI14inclusive_scandLj128ELj64ELj100EEvPKT0_PS1_S1_, .Lfunc_end22-_Z6kernelI14inclusive_scandLj128ELj64ELj100EEvPKT0_PS1_S1_
                                        ; -- End function
	.set _Z6kernelI14inclusive_scandLj128ELj64ELj100EEvPKT0_PS1_S1_.num_vgpr, 6
	.set _Z6kernelI14inclusive_scandLj128ELj64ELj100EEvPKT0_PS1_S1_.num_agpr, 0
	.set _Z6kernelI14inclusive_scandLj128ELj64ELj100EEvPKT0_PS1_S1_.numbered_sgpr, 15
	.set _Z6kernelI14inclusive_scandLj128ELj64ELj100EEvPKT0_PS1_S1_.num_named_barrier, 0
	.set _Z6kernelI14inclusive_scandLj128ELj64ELj100EEvPKT0_PS1_S1_.private_seg_size, 0
	.set _Z6kernelI14inclusive_scandLj128ELj64ELj100EEvPKT0_PS1_S1_.uses_vcc, 1
	.set _Z6kernelI14inclusive_scandLj128ELj64ELj100EEvPKT0_PS1_S1_.uses_flat_scratch, 0
	.set _Z6kernelI14inclusive_scandLj128ELj64ELj100EEvPKT0_PS1_S1_.has_dyn_sized_stack, 0
	.set _Z6kernelI14inclusive_scandLj128ELj64ELj100EEvPKT0_PS1_S1_.has_recursion, 0
	.set _Z6kernelI14inclusive_scandLj128ELj64ELj100EEvPKT0_PS1_S1_.has_indirect_call, 0
	.section	.AMDGPU.csdata,"",@progbits
; Kernel info:
; codeLenInByte = 408
; TotalNumSgprs: 19
; NumVgprs: 6
; ScratchSize: 0
; MemoryBound: 0
; FloatMode: 240
; IeeeMode: 1
; LDSByteSize: 0 bytes/workgroup (compile time only)
; SGPRBlocks: 2
; VGPRBlocks: 1
; NumSGPRsForWavesPerEU: 19
; NumVGPRsForWavesPerEU: 6
; Occupancy: 10
; WaveLimiterHint : 0
; COMPUTE_PGM_RSRC2:SCRATCH_EN: 0
; COMPUTE_PGM_RSRC2:USER_SGPR: 6
; COMPUTE_PGM_RSRC2:TRAP_HANDLER: 0
; COMPUTE_PGM_RSRC2:TGID_X_EN: 1
; COMPUTE_PGM_RSRC2:TGID_Y_EN: 0
; COMPUTE_PGM_RSRC2:TGID_Z_EN: 0
; COMPUTE_PGM_RSRC2:TIDIG_COMP_CNT: 0
	.section	.text._Z6kernelI14inclusive_scandLj256ELj64ELj100EEvPKT0_PS1_S1_,"axG",@progbits,_Z6kernelI14inclusive_scandLj256ELj64ELj100EEvPKT0_PS1_S1_,comdat
	.protected	_Z6kernelI14inclusive_scandLj256ELj64ELj100EEvPKT0_PS1_S1_ ; -- Begin function _Z6kernelI14inclusive_scandLj256ELj64ELj100EEvPKT0_PS1_S1_
	.globl	_Z6kernelI14inclusive_scandLj256ELj64ELj100EEvPKT0_PS1_S1_
	.p2align	8
	.type	_Z6kernelI14inclusive_scandLj256ELj64ELj100EEvPKT0_PS1_S1_,@function
_Z6kernelI14inclusive_scandLj256ELj64ELj100EEvPKT0_PS1_S1_: ; @_Z6kernelI14inclusive_scandLj256ELj64ELj100EEvPKT0_PS1_S1_
; %bb.0:
	s_load_dword s0, s[4:5], 0x24
	s_load_dwordx4 s[8:11], s[4:5], 0x0
	v_mov_b32_e32 v1, 0
	v_mbcnt_lo_u32_b32 v4, -1, 0
	v_mbcnt_hi_u32_b32 v4, -1, v4
	s_waitcnt lgkmcnt(0)
	s_and_b32 s0, s0, 0xffff
	s_mul_i32 s6, s6, s0
	v_add_u32_e32 v0, s6, v0
	v_lshlrev_b64 v[0:1], 3, v[0:1]
	v_mov_b32_e32 v3, s9
	v_add_co_u32_e32 v2, vcc, s8, v0
	v_addc_co_u32_e32 v3, vcc, v3, v1, vcc
	global_load_dwordx2 v[2:3], v[2:3], off
	v_and_b32_e32 v5, 15, v4
	v_cmp_ne_u32_e32 vcc, 0, v5
	v_cmp_lt_u32_e64 s[0:1], 1, v5
	v_cmp_lt_u32_e64 s[2:3], 3, v5
	;; [unrolled: 1-line block ×3, first 2 shown]
	v_and_b32_e32 v5, 16, v4
	v_cmp_ne_u32_e64 s[6:7], 0, v5
	v_cmp_lt_u32_e64 s[8:9], 31, v4
	s_movk_i32 s14, 0x64
	s_branch .LBB23_2
.LBB23_1:                               ;   in Loop: Header=BB23_2 Depth=1
	s_or_b64 exec, exec, s[12:13]
	v_mov_b32_dpp v4, v2 row_bcast:31 row_mask:0xf bank_mask:0xf
	v_mov_b32_dpp v5, v3 row_bcast:31 row_mask:0xf bank_mask:0xf
	v_add_f64 v[4:5], v[2:3], v[4:5]
	s_add_i32 s14, s14, -1
	s_cmp_lg_u32 s14, 0
	v_cndmask_b32_e64 v3, v3, v5, s[8:9]
	v_cndmask_b32_e64 v2, v2, v4, s[8:9]
	s_cbranch_scc0 .LBB23_12
.LBB23_2:                               ; =>This Inner Loop Header: Depth=1
	s_waitcnt vmcnt(0)
	v_mov_b32_dpp v4, v2 row_shr:1 row_mask:0xf bank_mask:0xf
	v_mov_b32_dpp v5, v3 row_shr:1 row_mask:0xf bank_mask:0xf
	s_and_saveexec_b64 s[12:13], vcc
; %bb.3:                                ;   in Loop: Header=BB23_2 Depth=1
	v_add_f64 v[2:3], v[2:3], v[4:5]
; %bb.4:                                ;   in Loop: Header=BB23_2 Depth=1
	s_or_b64 exec, exec, s[12:13]
	s_nop 0
	v_mov_b32_dpp v4, v2 row_shr:2 row_mask:0xf bank_mask:0xf
	v_mov_b32_dpp v5, v3 row_shr:2 row_mask:0xf bank_mask:0xf
	s_and_saveexec_b64 s[12:13], s[0:1]
; %bb.5:                                ;   in Loop: Header=BB23_2 Depth=1
	v_add_f64 v[2:3], v[2:3], v[4:5]
; %bb.6:                                ;   in Loop: Header=BB23_2 Depth=1
	s_or_b64 exec, exec, s[12:13]
	s_nop 0
	v_mov_b32_dpp v4, v2 row_shr:4 row_mask:0xf bank_mask:0xf
	v_mov_b32_dpp v5, v3 row_shr:4 row_mask:0xf bank_mask:0xf
	s_and_saveexec_b64 s[12:13], s[2:3]
; %bb.7:                                ;   in Loop: Header=BB23_2 Depth=1
	v_add_f64 v[2:3], v[2:3], v[4:5]
; %bb.8:                                ;   in Loop: Header=BB23_2 Depth=1
	s_or_b64 exec, exec, s[12:13]
	s_nop 0
	v_mov_b32_dpp v4, v2 row_shr:8 row_mask:0xf bank_mask:0xf
	v_mov_b32_dpp v5, v3 row_shr:8 row_mask:0xf bank_mask:0xf
	s_and_saveexec_b64 s[12:13], s[4:5]
; %bb.9:                                ;   in Loop: Header=BB23_2 Depth=1
	v_add_f64 v[2:3], v[2:3], v[4:5]
; %bb.10:                               ;   in Loop: Header=BB23_2 Depth=1
	s_or_b64 exec, exec, s[12:13]
	s_nop 0
	v_mov_b32_dpp v4, v2 row_bcast:15 row_mask:0xf bank_mask:0xf
	v_mov_b32_dpp v5, v3 row_bcast:15 row_mask:0xf bank_mask:0xf
	s_and_saveexec_b64 s[12:13], s[6:7]
	s_cbranch_execz .LBB23_1
; %bb.11:                               ;   in Loop: Header=BB23_2 Depth=1
	v_add_f64 v[2:3], v[2:3], v[4:5]
	s_branch .LBB23_1
.LBB23_12:
	v_mov_b32_e32 v4, s11
	v_add_co_u32_e32 v0, vcc, s10, v0
	v_addc_co_u32_e32 v1, vcc, v4, v1, vcc
	global_store_dwordx2 v[0:1], v[2:3], off
	s_endpgm
	.section	.rodata,"a",@progbits
	.p2align	6, 0x0
	.amdhsa_kernel _Z6kernelI14inclusive_scandLj256ELj64ELj100EEvPKT0_PS1_S1_
		.amdhsa_group_segment_fixed_size 0
		.amdhsa_private_segment_fixed_size 0
		.amdhsa_kernarg_size 280
		.amdhsa_user_sgpr_count 6
		.amdhsa_user_sgpr_private_segment_buffer 1
		.amdhsa_user_sgpr_dispatch_ptr 0
		.amdhsa_user_sgpr_queue_ptr 0
		.amdhsa_user_sgpr_kernarg_segment_ptr 1
		.amdhsa_user_sgpr_dispatch_id 0
		.amdhsa_user_sgpr_flat_scratch_init 0
		.amdhsa_user_sgpr_private_segment_size 0
		.amdhsa_uses_dynamic_stack 0
		.amdhsa_system_sgpr_private_segment_wavefront_offset 0
		.amdhsa_system_sgpr_workgroup_id_x 1
		.amdhsa_system_sgpr_workgroup_id_y 0
		.amdhsa_system_sgpr_workgroup_id_z 0
		.amdhsa_system_sgpr_workgroup_info 0
		.amdhsa_system_vgpr_workitem_id 0
		.amdhsa_next_free_vgpr 6
		.amdhsa_next_free_sgpr 15
		.amdhsa_reserve_vcc 1
		.amdhsa_reserve_flat_scratch 0
		.amdhsa_float_round_mode_32 0
		.amdhsa_float_round_mode_16_64 0
		.amdhsa_float_denorm_mode_32 3
		.amdhsa_float_denorm_mode_16_64 3
		.amdhsa_dx10_clamp 1
		.amdhsa_ieee_mode 1
		.amdhsa_fp16_overflow 0
		.amdhsa_exception_fp_ieee_invalid_op 0
		.amdhsa_exception_fp_denorm_src 0
		.amdhsa_exception_fp_ieee_div_zero 0
		.amdhsa_exception_fp_ieee_overflow 0
		.amdhsa_exception_fp_ieee_underflow 0
		.amdhsa_exception_fp_ieee_inexact 0
		.amdhsa_exception_int_div_zero 0
	.end_amdhsa_kernel
	.section	.text._Z6kernelI14inclusive_scandLj256ELj64ELj100EEvPKT0_PS1_S1_,"axG",@progbits,_Z6kernelI14inclusive_scandLj256ELj64ELj100EEvPKT0_PS1_S1_,comdat
.Lfunc_end23:
	.size	_Z6kernelI14inclusive_scandLj256ELj64ELj100EEvPKT0_PS1_S1_, .Lfunc_end23-_Z6kernelI14inclusive_scandLj256ELj64ELj100EEvPKT0_PS1_S1_
                                        ; -- End function
	.set _Z6kernelI14inclusive_scandLj256ELj64ELj100EEvPKT0_PS1_S1_.num_vgpr, 6
	.set _Z6kernelI14inclusive_scandLj256ELj64ELj100EEvPKT0_PS1_S1_.num_agpr, 0
	.set _Z6kernelI14inclusive_scandLj256ELj64ELj100EEvPKT0_PS1_S1_.numbered_sgpr, 15
	.set _Z6kernelI14inclusive_scandLj256ELj64ELj100EEvPKT0_PS1_S1_.num_named_barrier, 0
	.set _Z6kernelI14inclusive_scandLj256ELj64ELj100EEvPKT0_PS1_S1_.private_seg_size, 0
	.set _Z6kernelI14inclusive_scandLj256ELj64ELj100EEvPKT0_PS1_S1_.uses_vcc, 1
	.set _Z6kernelI14inclusive_scandLj256ELj64ELj100EEvPKT0_PS1_S1_.uses_flat_scratch, 0
	.set _Z6kernelI14inclusive_scandLj256ELj64ELj100EEvPKT0_PS1_S1_.has_dyn_sized_stack, 0
	.set _Z6kernelI14inclusive_scandLj256ELj64ELj100EEvPKT0_PS1_S1_.has_recursion, 0
	.set _Z6kernelI14inclusive_scandLj256ELj64ELj100EEvPKT0_PS1_S1_.has_indirect_call, 0
	.section	.AMDGPU.csdata,"",@progbits
; Kernel info:
; codeLenInByte = 408
; TotalNumSgprs: 19
; NumVgprs: 6
; ScratchSize: 0
; MemoryBound: 0
; FloatMode: 240
; IeeeMode: 1
; LDSByteSize: 0 bytes/workgroup (compile time only)
; SGPRBlocks: 2
; VGPRBlocks: 1
; NumSGPRsForWavesPerEU: 19
; NumVGPRsForWavesPerEU: 6
; Occupancy: 10
; WaveLimiterHint : 0
; COMPUTE_PGM_RSRC2:SCRATCH_EN: 0
; COMPUTE_PGM_RSRC2:USER_SGPR: 6
; COMPUTE_PGM_RSRC2:TRAP_HANDLER: 0
; COMPUTE_PGM_RSRC2:TGID_X_EN: 1
; COMPUTE_PGM_RSRC2:TGID_Y_EN: 0
; COMPUTE_PGM_RSRC2:TGID_Z_EN: 0
; COMPUTE_PGM_RSRC2:TIDIG_COMP_CNT: 0
	.section	.text._Z6kernelI14inclusive_scanaLj60ELj15ELj100EEvPKT0_PS1_S1_,"axG",@progbits,_Z6kernelI14inclusive_scanaLj60ELj15ELj100EEvPKT0_PS1_S1_,comdat
	.protected	_Z6kernelI14inclusive_scanaLj60ELj15ELj100EEvPKT0_PS1_S1_ ; -- Begin function _Z6kernelI14inclusive_scanaLj60ELj15ELj100EEvPKT0_PS1_S1_
	.globl	_Z6kernelI14inclusive_scanaLj60ELj15ELj100EEvPKT0_PS1_S1_
	.p2align	8
	.type	_Z6kernelI14inclusive_scanaLj60ELj15ELj100EEvPKT0_PS1_S1_,@function
_Z6kernelI14inclusive_scanaLj60ELj15ELj100EEvPKT0_PS1_S1_: ; @_Z6kernelI14inclusive_scanaLj60ELj15ELj100EEvPKT0_PS1_S1_
; %bb.0:
	s_load_dword s0, s[4:5], 0x24
	s_load_dwordx4 s[8:11], s[4:5], 0x0
	v_mbcnt_lo_u32_b32 v2, -1, 0
	v_mbcnt_hi_u32_b32 v2, -1, v2
	s_waitcnt lgkmcnt(0)
	s_and_b32 s0, s0, 0xffff
	s_mul_i32 s6, s6, s0
	v_add_u32_e32 v1, s6, v0
	global_load_ubyte v0, v1, s[8:9]
	s_mov_b32 s0, 0x11111112
	v_mul_hi_u32 v3, v2, s0
	s_movk_i32 s8, 0x64
	v_mul_u32_u24_e32 v3, 15, v3
	v_sub_u32_e32 v2, v2, v3
	v_cmp_ne_u32_e32 vcc, 0, v2
	v_cmp_lt_u32_e64 s[0:1], 1, v2
	v_cmp_lt_u32_e64 s[2:3], 3, v2
	;; [unrolled: 1-line block ×3, first 2 shown]
	v_add_u32_e32 v3, -1, v2
	v_add_u32_e32 v4, -2, v2
	;; [unrolled: 1-line block ×4, first 2 shown]
	s_branch .LBB24_2
.LBB24_1:                               ;   in Loop: Header=BB24_2 Depth=1
	s_or_b64 exec, exec, s[6:7]
	s_add_i32 s8, s8, -1
	s_cmp_lg_u32 s8, 0
	; wave barrier
	s_cbranch_scc0 .LBB24_18
.LBB24_2:                               ; =>This Inner Loop Header: Depth=1
	s_waitcnt vmcnt(0)
	ds_write_b8 v2, v0
	; wave barrier
	s_and_saveexec_b64 s[6:7], vcc
	s_cbranch_execz .LBB24_4
; %bb.3:                                ;   in Loop: Header=BB24_2 Depth=1
	ds_read_u8 v7, v3
	s_waitcnt lgkmcnt(0)
	v_add_u16_e32 v0, v7, v0
.LBB24_4:                               ;   in Loop: Header=BB24_2 Depth=1
	s_or_b64 exec, exec, s[6:7]
	; wave barrier
	s_and_saveexec_b64 s[6:7], vcc
; %bb.5:                                ;   in Loop: Header=BB24_2 Depth=1
	ds_write_b8 v2, v0
; %bb.6:                                ;   in Loop: Header=BB24_2 Depth=1
	s_or_b64 exec, exec, s[6:7]
	; wave barrier
	s_and_saveexec_b64 s[6:7], s[0:1]
	s_cbranch_execz .LBB24_8
; %bb.7:                                ;   in Loop: Header=BB24_2 Depth=1
	ds_read_u8 v7, v4
	s_waitcnt lgkmcnt(0)
	v_add_u16_e32 v0, v7, v0
.LBB24_8:                               ;   in Loop: Header=BB24_2 Depth=1
	s_or_b64 exec, exec, s[6:7]
	; wave barrier
	s_and_saveexec_b64 s[6:7], s[0:1]
; %bb.9:                                ;   in Loop: Header=BB24_2 Depth=1
	ds_write_b8 v2, v0
; %bb.10:                               ;   in Loop: Header=BB24_2 Depth=1
	s_or_b64 exec, exec, s[6:7]
	; wave barrier
	s_and_saveexec_b64 s[6:7], s[2:3]
	s_cbranch_execz .LBB24_12
; %bb.11:                               ;   in Loop: Header=BB24_2 Depth=1
	ds_read_u8 v7, v5
	s_waitcnt lgkmcnt(0)
	v_add_u16_e32 v0, v7, v0
.LBB24_12:                              ;   in Loop: Header=BB24_2 Depth=1
	s_or_b64 exec, exec, s[6:7]
	; wave barrier
	s_and_saveexec_b64 s[6:7], s[2:3]
; %bb.13:                               ;   in Loop: Header=BB24_2 Depth=1
	ds_write_b8 v2, v0
; %bb.14:                               ;   in Loop: Header=BB24_2 Depth=1
	s_or_b64 exec, exec, s[6:7]
	; wave barrier
	s_and_saveexec_b64 s[6:7], s[4:5]
	s_cbranch_execz .LBB24_16
; %bb.15:                               ;   in Loop: Header=BB24_2 Depth=1
	ds_read_u8 v7, v6
	s_waitcnt lgkmcnt(0)
	v_add_u16_e32 v0, v7, v0
.LBB24_16:                              ;   in Loop: Header=BB24_2 Depth=1
	s_or_b64 exec, exec, s[6:7]
	; wave barrier
	s_and_saveexec_b64 s[6:7], s[4:5]
	s_cbranch_execz .LBB24_1
; %bb.17:                               ;   in Loop: Header=BB24_2 Depth=1
	ds_write_b8 v2, v0
	s_branch .LBB24_1
.LBB24_18:
	v_mov_b32_e32 v2, s11
	v_add_co_u32_e32 v1, vcc, s10, v1
	v_addc_co_u32_e32 v2, vcc, 0, v2, vcc
	global_store_byte v[1:2], v0, off
	s_endpgm
	.section	.rodata,"a",@progbits
	.p2align	6, 0x0
	.amdhsa_kernel _Z6kernelI14inclusive_scanaLj60ELj15ELj100EEvPKT0_PS1_S1_
		.amdhsa_group_segment_fixed_size 15
		.amdhsa_private_segment_fixed_size 0
		.amdhsa_kernarg_size 280
		.amdhsa_user_sgpr_count 6
		.amdhsa_user_sgpr_private_segment_buffer 1
		.amdhsa_user_sgpr_dispatch_ptr 0
		.amdhsa_user_sgpr_queue_ptr 0
		.amdhsa_user_sgpr_kernarg_segment_ptr 1
		.amdhsa_user_sgpr_dispatch_id 0
		.amdhsa_user_sgpr_flat_scratch_init 0
		.amdhsa_user_sgpr_private_segment_size 0
		.amdhsa_uses_dynamic_stack 0
		.amdhsa_system_sgpr_private_segment_wavefront_offset 0
		.amdhsa_system_sgpr_workgroup_id_x 1
		.amdhsa_system_sgpr_workgroup_id_y 0
		.amdhsa_system_sgpr_workgroup_id_z 0
		.amdhsa_system_sgpr_workgroup_info 0
		.amdhsa_system_vgpr_workitem_id 0
		.amdhsa_next_free_vgpr 8
		.amdhsa_next_free_sgpr 12
		.amdhsa_reserve_vcc 1
		.amdhsa_reserve_flat_scratch 0
		.amdhsa_float_round_mode_32 0
		.amdhsa_float_round_mode_16_64 0
		.amdhsa_float_denorm_mode_32 3
		.amdhsa_float_denorm_mode_16_64 3
		.amdhsa_dx10_clamp 1
		.amdhsa_ieee_mode 1
		.amdhsa_fp16_overflow 0
		.amdhsa_exception_fp_ieee_invalid_op 0
		.amdhsa_exception_fp_denorm_src 0
		.amdhsa_exception_fp_ieee_div_zero 0
		.amdhsa_exception_fp_ieee_overflow 0
		.amdhsa_exception_fp_ieee_underflow 0
		.amdhsa_exception_fp_ieee_inexact 0
		.amdhsa_exception_int_div_zero 0
	.end_amdhsa_kernel
	.section	.text._Z6kernelI14inclusive_scanaLj60ELj15ELj100EEvPKT0_PS1_S1_,"axG",@progbits,_Z6kernelI14inclusive_scanaLj60ELj15ELj100EEvPKT0_PS1_S1_,comdat
.Lfunc_end24:
	.size	_Z6kernelI14inclusive_scanaLj60ELj15ELj100EEvPKT0_PS1_S1_, .Lfunc_end24-_Z6kernelI14inclusive_scanaLj60ELj15ELj100EEvPKT0_PS1_S1_
                                        ; -- End function
	.set _Z6kernelI14inclusive_scanaLj60ELj15ELj100EEvPKT0_PS1_S1_.num_vgpr, 8
	.set _Z6kernelI14inclusive_scanaLj60ELj15ELj100EEvPKT0_PS1_S1_.num_agpr, 0
	.set _Z6kernelI14inclusive_scanaLj60ELj15ELj100EEvPKT0_PS1_S1_.numbered_sgpr, 12
	.set _Z6kernelI14inclusive_scanaLj60ELj15ELj100EEvPKT0_PS1_S1_.num_named_barrier, 0
	.set _Z6kernelI14inclusive_scanaLj60ELj15ELj100EEvPKT0_PS1_S1_.private_seg_size, 0
	.set _Z6kernelI14inclusive_scanaLj60ELj15ELj100EEvPKT0_PS1_S1_.uses_vcc, 1
	.set _Z6kernelI14inclusive_scanaLj60ELj15ELj100EEvPKT0_PS1_S1_.uses_flat_scratch, 0
	.set _Z6kernelI14inclusive_scanaLj60ELj15ELj100EEvPKT0_PS1_S1_.has_dyn_sized_stack, 0
	.set _Z6kernelI14inclusive_scanaLj60ELj15ELj100EEvPKT0_PS1_S1_.has_recursion, 0
	.set _Z6kernelI14inclusive_scanaLj60ELj15ELj100EEvPKT0_PS1_S1_.has_indirect_call, 0
	.section	.AMDGPU.csdata,"",@progbits
; Kernel info:
; codeLenInByte = 368
; TotalNumSgprs: 16
; NumVgprs: 8
; ScratchSize: 0
; MemoryBound: 0
; FloatMode: 240
; IeeeMode: 1
; LDSByteSize: 15 bytes/workgroup (compile time only)
; SGPRBlocks: 1
; VGPRBlocks: 1
; NumSGPRsForWavesPerEU: 16
; NumVGPRsForWavesPerEU: 8
; Occupancy: 10
; WaveLimiterHint : 0
; COMPUTE_PGM_RSRC2:SCRATCH_EN: 0
; COMPUTE_PGM_RSRC2:USER_SGPR: 6
; COMPUTE_PGM_RSRC2:TRAP_HANDLER: 0
; COMPUTE_PGM_RSRC2:TGID_X_EN: 1
; COMPUTE_PGM_RSRC2:TGID_Y_EN: 0
; COMPUTE_PGM_RSRC2:TGID_Z_EN: 0
; COMPUTE_PGM_RSRC2:TIDIG_COMP_CNT: 0
	.section	.text._Z6kernelI14inclusive_scanaLj256ELj16ELj100EEvPKT0_PS1_S1_,"axG",@progbits,_Z6kernelI14inclusive_scanaLj256ELj16ELj100EEvPKT0_PS1_S1_,comdat
	.protected	_Z6kernelI14inclusive_scanaLj256ELj16ELj100EEvPKT0_PS1_S1_ ; -- Begin function _Z6kernelI14inclusive_scanaLj256ELj16ELj100EEvPKT0_PS1_S1_
	.globl	_Z6kernelI14inclusive_scanaLj256ELj16ELj100EEvPKT0_PS1_S1_
	.p2align	8
	.type	_Z6kernelI14inclusive_scanaLj256ELj16ELj100EEvPKT0_PS1_S1_,@function
_Z6kernelI14inclusive_scanaLj256ELj16ELj100EEvPKT0_PS1_S1_: ; @_Z6kernelI14inclusive_scanaLj256ELj16ELj100EEvPKT0_PS1_S1_
; %bb.0:
	s_load_dword s0, s[4:5], 0x24
	s_load_dwordx4 s[8:11], s[4:5], 0x0
	v_mbcnt_lo_u32_b32 v2, -1, 0
	v_mbcnt_hi_u32_b32 v2, -1, v2
	v_and_b32_e32 v2, 15, v2
	s_waitcnt lgkmcnt(0)
	s_and_b32 s0, s0, 0xffff
	s_mul_i32 s6, s6, s0
	v_add_u32_e32 v0, s6, v0
	global_load_ubyte v1, v0, s[8:9]
	v_cmp_eq_u32_e32 vcc, 0, v2
	v_cmp_lt_u32_e64 s[0:1], 1, v2
	v_cmp_lt_u32_e64 s[2:3], 3, v2
	;; [unrolled: 1-line block ×3, first 2 shown]
	s_movk_i32 s6, 0x64
.LBB25_1:                               ; =>This Inner Loop Header: Depth=1
	s_waitcnt vmcnt(0)
	v_and_b32_e32 v2, 0xff, v1
	s_add_i32 s6, s6, -1
	s_cmp_lg_u32 s6, 0
	v_mov_b32_dpp v2, v2 row_shr:1 row_mask:0xf bank_mask:0xf
	v_cndmask_b32_e64 v2, v2, 0, vcc
	v_add_u16_e32 v1, v2, v1
	v_and_b32_e32 v2, 0xff, v1
	s_nop 1
	v_mov_b32_dpp v2, v2 row_shr:2 row_mask:0xf bank_mask:0xf
	v_cndmask_b32_e64 v2, 0, v2, s[0:1]
	v_add_u16_e32 v1, v1, v2
	v_and_b32_e32 v2, 0xff, v1
	s_nop 1
	v_mov_b32_dpp v2, v2 row_shr:4 row_mask:0xf bank_mask:0xf
	v_cndmask_b32_e64 v2, 0, v2, s[2:3]
	;; [unrolled: 5-line block ×3, first 2 shown]
	v_add_u16_e32 v1, v1, v2
	s_cbranch_scc1 .LBB25_1
; %bb.2:
	v_mov_b32_e32 v3, s11
	v_add_co_u32_e32 v2, vcc, s10, v0
	v_addc_co_u32_e32 v3, vcc, 0, v3, vcc
	global_store_byte v[2:3], v1, off
	s_endpgm
	.section	.rodata,"a",@progbits
	.p2align	6, 0x0
	.amdhsa_kernel _Z6kernelI14inclusive_scanaLj256ELj16ELj100EEvPKT0_PS1_S1_
		.amdhsa_group_segment_fixed_size 0
		.amdhsa_private_segment_fixed_size 0
		.amdhsa_kernarg_size 280
		.amdhsa_user_sgpr_count 6
		.amdhsa_user_sgpr_private_segment_buffer 1
		.amdhsa_user_sgpr_dispatch_ptr 0
		.amdhsa_user_sgpr_queue_ptr 0
		.amdhsa_user_sgpr_kernarg_segment_ptr 1
		.amdhsa_user_sgpr_dispatch_id 0
		.amdhsa_user_sgpr_flat_scratch_init 0
		.amdhsa_user_sgpr_private_segment_size 0
		.amdhsa_uses_dynamic_stack 0
		.amdhsa_system_sgpr_private_segment_wavefront_offset 0
		.amdhsa_system_sgpr_workgroup_id_x 1
		.amdhsa_system_sgpr_workgroup_id_y 0
		.amdhsa_system_sgpr_workgroup_id_z 0
		.amdhsa_system_sgpr_workgroup_info 0
		.amdhsa_system_vgpr_workitem_id 0
		.amdhsa_next_free_vgpr 4
		.amdhsa_next_free_sgpr 12
		.amdhsa_reserve_vcc 1
		.amdhsa_reserve_flat_scratch 0
		.amdhsa_float_round_mode_32 0
		.amdhsa_float_round_mode_16_64 0
		.amdhsa_float_denorm_mode_32 3
		.amdhsa_float_denorm_mode_16_64 3
		.amdhsa_dx10_clamp 1
		.amdhsa_ieee_mode 1
		.amdhsa_fp16_overflow 0
		.amdhsa_exception_fp_ieee_invalid_op 0
		.amdhsa_exception_fp_denorm_src 0
		.amdhsa_exception_fp_ieee_div_zero 0
		.amdhsa_exception_fp_ieee_overflow 0
		.amdhsa_exception_fp_ieee_underflow 0
		.amdhsa_exception_fp_ieee_inexact 0
		.amdhsa_exception_int_div_zero 0
	.end_amdhsa_kernel
	.section	.text._Z6kernelI14inclusive_scanaLj256ELj16ELj100EEvPKT0_PS1_S1_,"axG",@progbits,_Z6kernelI14inclusive_scanaLj256ELj16ELj100EEvPKT0_PS1_S1_,comdat
.Lfunc_end25:
	.size	_Z6kernelI14inclusive_scanaLj256ELj16ELj100EEvPKT0_PS1_S1_, .Lfunc_end25-_Z6kernelI14inclusive_scanaLj256ELj16ELj100EEvPKT0_PS1_S1_
                                        ; -- End function
	.set _Z6kernelI14inclusive_scanaLj256ELj16ELj100EEvPKT0_PS1_S1_.num_vgpr, 4
	.set _Z6kernelI14inclusive_scanaLj256ELj16ELj100EEvPKT0_PS1_S1_.num_agpr, 0
	.set _Z6kernelI14inclusive_scanaLj256ELj16ELj100EEvPKT0_PS1_S1_.numbered_sgpr, 12
	.set _Z6kernelI14inclusive_scanaLj256ELj16ELj100EEvPKT0_PS1_S1_.num_named_barrier, 0
	.set _Z6kernelI14inclusive_scanaLj256ELj16ELj100EEvPKT0_PS1_S1_.private_seg_size, 0
	.set _Z6kernelI14inclusive_scanaLj256ELj16ELj100EEvPKT0_PS1_S1_.uses_vcc, 1
	.set _Z6kernelI14inclusive_scanaLj256ELj16ELj100EEvPKT0_PS1_S1_.uses_flat_scratch, 0
	.set _Z6kernelI14inclusive_scanaLj256ELj16ELj100EEvPKT0_PS1_S1_.has_dyn_sized_stack, 0
	.set _Z6kernelI14inclusive_scanaLj256ELj16ELj100EEvPKT0_PS1_S1_.has_recursion, 0
	.set _Z6kernelI14inclusive_scanaLj256ELj16ELj100EEvPKT0_PS1_S1_.has_indirect_call, 0
	.section	.AMDGPU.csdata,"",@progbits
; Kernel info:
; codeLenInByte = 260
; TotalNumSgprs: 16
; NumVgprs: 4
; ScratchSize: 0
; MemoryBound: 0
; FloatMode: 240
; IeeeMode: 1
; LDSByteSize: 0 bytes/workgroup (compile time only)
; SGPRBlocks: 1
; VGPRBlocks: 0
; NumSGPRsForWavesPerEU: 16
; NumVGPRsForWavesPerEU: 4
; Occupancy: 10
; WaveLimiterHint : 0
; COMPUTE_PGM_RSRC2:SCRATCH_EN: 0
; COMPUTE_PGM_RSRC2:USER_SGPR: 6
; COMPUTE_PGM_RSRC2:TRAP_HANDLER: 0
; COMPUTE_PGM_RSRC2:TGID_X_EN: 1
; COMPUTE_PGM_RSRC2:TGID_Y_EN: 0
; COMPUTE_PGM_RSRC2:TGID_Z_EN: 0
; COMPUTE_PGM_RSRC2:TIDIG_COMP_CNT: 0
	.section	.text._Z6kernelI14inclusive_scanaLj62ELj31ELj100EEvPKT0_PS1_S1_,"axG",@progbits,_Z6kernelI14inclusive_scanaLj62ELj31ELj100EEvPKT0_PS1_S1_,comdat
	.protected	_Z6kernelI14inclusive_scanaLj62ELj31ELj100EEvPKT0_PS1_S1_ ; -- Begin function _Z6kernelI14inclusive_scanaLj62ELj31ELj100EEvPKT0_PS1_S1_
	.globl	_Z6kernelI14inclusive_scanaLj62ELj31ELj100EEvPKT0_PS1_S1_
	.p2align	8
	.type	_Z6kernelI14inclusive_scanaLj62ELj31ELj100EEvPKT0_PS1_S1_,@function
_Z6kernelI14inclusive_scanaLj62ELj31ELj100EEvPKT0_PS1_S1_: ; @_Z6kernelI14inclusive_scanaLj62ELj31ELj100EEvPKT0_PS1_S1_
; %bb.0:
	s_load_dword s0, s[4:5], 0x24
	s_load_dwordx4 s[8:11], s[4:5], 0x0
	v_mbcnt_lo_u32_b32 v2, -1, 0
	v_mbcnt_hi_u32_b32 v2, -1, v2
	s_movk_i32 s12, 0x64
	s_waitcnt lgkmcnt(0)
	s_and_b32 s0, s0, 0xffff
	s_mul_i32 s6, s6, s0
	v_add_u32_e32 v1, s6, v0
	global_load_ubyte v0, v1, s[8:9]
	s_mov_b32 s0, 0x8421085
	v_mul_hi_u32 v3, v2, s0
	v_mul_u32_u24_e32 v3, 31, v3
	v_sub_u32_e32 v2, v2, v3
	v_cmp_ne_u32_e32 vcc, 0, v2
	v_cmp_lt_u32_e64 s[0:1], 1, v2
	v_cmp_lt_u32_e64 s[2:3], 3, v2
	;; [unrolled: 1-line block ×4, first 2 shown]
	v_add_u32_e32 v3, -1, v2
	v_add_u32_e32 v4, -2, v2
	;; [unrolled: 1-line block ×5, first 2 shown]
	s_branch .LBB26_2
.LBB26_1:                               ;   in Loop: Header=BB26_2 Depth=1
	s_or_b64 exec, exec, s[8:9]
	s_add_i32 s12, s12, -1
	s_cmp_lg_u32 s12, 0
	; wave barrier
	s_cbranch_scc0 .LBB26_22
.LBB26_2:                               ; =>This Inner Loop Header: Depth=1
	s_waitcnt vmcnt(0)
	ds_write_b8 v2, v0
	; wave barrier
	s_and_saveexec_b64 s[8:9], vcc
	s_cbranch_execz .LBB26_4
; %bb.3:                                ;   in Loop: Header=BB26_2 Depth=1
	ds_read_u8 v8, v3
	s_waitcnt lgkmcnt(0)
	v_add_u16_e32 v0, v8, v0
.LBB26_4:                               ;   in Loop: Header=BB26_2 Depth=1
	s_or_b64 exec, exec, s[8:9]
	; wave barrier
	s_and_saveexec_b64 s[8:9], vcc
; %bb.5:                                ;   in Loop: Header=BB26_2 Depth=1
	ds_write_b8 v2, v0
; %bb.6:                                ;   in Loop: Header=BB26_2 Depth=1
	s_or_b64 exec, exec, s[8:9]
	; wave barrier
	s_and_saveexec_b64 s[8:9], s[0:1]
	s_cbranch_execz .LBB26_8
; %bb.7:                                ;   in Loop: Header=BB26_2 Depth=1
	ds_read_u8 v8, v4
	s_waitcnt lgkmcnt(0)
	v_add_u16_e32 v0, v8, v0
.LBB26_8:                               ;   in Loop: Header=BB26_2 Depth=1
	s_or_b64 exec, exec, s[8:9]
	; wave barrier
	s_and_saveexec_b64 s[8:9], s[0:1]
; %bb.9:                                ;   in Loop: Header=BB26_2 Depth=1
	ds_write_b8 v2, v0
; %bb.10:                               ;   in Loop: Header=BB26_2 Depth=1
	s_or_b64 exec, exec, s[8:9]
	; wave barrier
	s_and_saveexec_b64 s[8:9], s[2:3]
	s_cbranch_execz .LBB26_12
; %bb.11:                               ;   in Loop: Header=BB26_2 Depth=1
	ds_read_u8 v8, v5
	s_waitcnt lgkmcnt(0)
	v_add_u16_e32 v0, v8, v0
.LBB26_12:                              ;   in Loop: Header=BB26_2 Depth=1
	s_or_b64 exec, exec, s[8:9]
	; wave barrier
	s_and_saveexec_b64 s[8:9], s[2:3]
; %bb.13:                               ;   in Loop: Header=BB26_2 Depth=1
	ds_write_b8 v2, v0
; %bb.14:                               ;   in Loop: Header=BB26_2 Depth=1
	s_or_b64 exec, exec, s[8:9]
	; wave barrier
	s_and_saveexec_b64 s[8:9], s[4:5]
	s_cbranch_execz .LBB26_16
; %bb.15:                               ;   in Loop: Header=BB26_2 Depth=1
	ds_read_u8 v8, v6
	s_waitcnt lgkmcnt(0)
	v_add_u16_e32 v0, v8, v0
.LBB26_16:                              ;   in Loop: Header=BB26_2 Depth=1
	s_or_b64 exec, exec, s[8:9]
	; wave barrier
	s_and_saveexec_b64 s[8:9], s[4:5]
; %bb.17:                               ;   in Loop: Header=BB26_2 Depth=1
	ds_write_b8 v2, v0
; %bb.18:                               ;   in Loop: Header=BB26_2 Depth=1
	s_or_b64 exec, exec, s[8:9]
	; wave barrier
	s_and_saveexec_b64 s[8:9], s[6:7]
	s_cbranch_execz .LBB26_20
; %bb.19:                               ;   in Loop: Header=BB26_2 Depth=1
	ds_read_u8 v8, v7
	s_waitcnt lgkmcnt(0)
	v_add_u16_e32 v0, v8, v0
.LBB26_20:                              ;   in Loop: Header=BB26_2 Depth=1
	s_or_b64 exec, exec, s[8:9]
	; wave barrier
	s_and_saveexec_b64 s[8:9], s[6:7]
	s_cbranch_execz .LBB26_1
; %bb.21:                               ;   in Loop: Header=BB26_2 Depth=1
	ds_write_b8 v2, v0
	s_branch .LBB26_1
.LBB26_22:
	v_mov_b32_e32 v2, s11
	v_add_co_u32_e32 v1, vcc, s10, v1
	v_addc_co_u32_e32 v2, vcc, 0, v2, vcc
	global_store_byte v[1:2], v0, off
	s_endpgm
	.section	.rodata,"a",@progbits
	.p2align	6, 0x0
	.amdhsa_kernel _Z6kernelI14inclusive_scanaLj62ELj31ELj100EEvPKT0_PS1_S1_
		.amdhsa_group_segment_fixed_size 31
		.amdhsa_private_segment_fixed_size 0
		.amdhsa_kernarg_size 280
		.amdhsa_user_sgpr_count 6
		.amdhsa_user_sgpr_private_segment_buffer 1
		.amdhsa_user_sgpr_dispatch_ptr 0
		.amdhsa_user_sgpr_queue_ptr 0
		.amdhsa_user_sgpr_kernarg_segment_ptr 1
		.amdhsa_user_sgpr_dispatch_id 0
		.amdhsa_user_sgpr_flat_scratch_init 0
		.amdhsa_user_sgpr_private_segment_size 0
		.amdhsa_uses_dynamic_stack 0
		.amdhsa_system_sgpr_private_segment_wavefront_offset 0
		.amdhsa_system_sgpr_workgroup_id_x 1
		.amdhsa_system_sgpr_workgroup_id_y 0
		.amdhsa_system_sgpr_workgroup_id_z 0
		.amdhsa_system_sgpr_workgroup_info 0
		.amdhsa_system_vgpr_workitem_id 0
		.amdhsa_next_free_vgpr 9
		.amdhsa_next_free_sgpr 13
		.amdhsa_reserve_vcc 1
		.amdhsa_reserve_flat_scratch 0
		.amdhsa_float_round_mode_32 0
		.amdhsa_float_round_mode_16_64 0
		.amdhsa_float_denorm_mode_32 3
		.amdhsa_float_denorm_mode_16_64 3
		.amdhsa_dx10_clamp 1
		.amdhsa_ieee_mode 1
		.amdhsa_fp16_overflow 0
		.amdhsa_exception_fp_ieee_invalid_op 0
		.amdhsa_exception_fp_denorm_src 0
		.amdhsa_exception_fp_ieee_div_zero 0
		.amdhsa_exception_fp_ieee_overflow 0
		.amdhsa_exception_fp_ieee_underflow 0
		.amdhsa_exception_fp_ieee_inexact 0
		.amdhsa_exception_int_div_zero 0
	.end_amdhsa_kernel
	.section	.text._Z6kernelI14inclusive_scanaLj62ELj31ELj100EEvPKT0_PS1_S1_,"axG",@progbits,_Z6kernelI14inclusive_scanaLj62ELj31ELj100EEvPKT0_PS1_S1_,comdat
.Lfunc_end26:
	.size	_Z6kernelI14inclusive_scanaLj62ELj31ELj100EEvPKT0_PS1_S1_, .Lfunc_end26-_Z6kernelI14inclusive_scanaLj62ELj31ELj100EEvPKT0_PS1_S1_
                                        ; -- End function
	.set _Z6kernelI14inclusive_scanaLj62ELj31ELj100EEvPKT0_PS1_S1_.num_vgpr, 9
	.set _Z6kernelI14inclusive_scanaLj62ELj31ELj100EEvPKT0_PS1_S1_.num_agpr, 0
	.set _Z6kernelI14inclusive_scanaLj62ELj31ELj100EEvPKT0_PS1_S1_.numbered_sgpr, 13
	.set _Z6kernelI14inclusive_scanaLj62ELj31ELj100EEvPKT0_PS1_S1_.num_named_barrier, 0
	.set _Z6kernelI14inclusive_scanaLj62ELj31ELj100EEvPKT0_PS1_S1_.private_seg_size, 0
	.set _Z6kernelI14inclusive_scanaLj62ELj31ELj100EEvPKT0_PS1_S1_.uses_vcc, 1
	.set _Z6kernelI14inclusive_scanaLj62ELj31ELj100EEvPKT0_PS1_S1_.uses_flat_scratch, 0
	.set _Z6kernelI14inclusive_scanaLj62ELj31ELj100EEvPKT0_PS1_S1_.has_dyn_sized_stack, 0
	.set _Z6kernelI14inclusive_scanaLj62ELj31ELj100EEvPKT0_PS1_S1_.has_recursion, 0
	.set _Z6kernelI14inclusive_scanaLj62ELj31ELj100EEvPKT0_PS1_S1_.has_indirect_call, 0
	.section	.AMDGPU.csdata,"",@progbits
; Kernel info:
; codeLenInByte = 424
; TotalNumSgprs: 17
; NumVgprs: 9
; ScratchSize: 0
; MemoryBound: 0
; FloatMode: 240
; IeeeMode: 1
; LDSByteSize: 31 bytes/workgroup (compile time only)
; SGPRBlocks: 2
; VGPRBlocks: 2
; NumSGPRsForWavesPerEU: 17
; NumVGPRsForWavesPerEU: 9
; Occupancy: 10
; WaveLimiterHint : 0
; COMPUTE_PGM_RSRC2:SCRATCH_EN: 0
; COMPUTE_PGM_RSRC2:USER_SGPR: 6
; COMPUTE_PGM_RSRC2:TRAP_HANDLER: 0
; COMPUTE_PGM_RSRC2:TGID_X_EN: 1
; COMPUTE_PGM_RSRC2:TGID_Y_EN: 0
; COMPUTE_PGM_RSRC2:TGID_Z_EN: 0
; COMPUTE_PGM_RSRC2:TIDIG_COMP_CNT: 0
	.section	.text._Z6kernelI14inclusive_scanaLj256ELj32ELj100EEvPKT0_PS1_S1_,"axG",@progbits,_Z6kernelI14inclusive_scanaLj256ELj32ELj100EEvPKT0_PS1_S1_,comdat
	.protected	_Z6kernelI14inclusive_scanaLj256ELj32ELj100EEvPKT0_PS1_S1_ ; -- Begin function _Z6kernelI14inclusive_scanaLj256ELj32ELj100EEvPKT0_PS1_S1_
	.globl	_Z6kernelI14inclusive_scanaLj256ELj32ELj100EEvPKT0_PS1_S1_
	.p2align	8
	.type	_Z6kernelI14inclusive_scanaLj256ELj32ELj100EEvPKT0_PS1_S1_,@function
_Z6kernelI14inclusive_scanaLj256ELj32ELj100EEvPKT0_PS1_S1_: ; @_Z6kernelI14inclusive_scanaLj256ELj32ELj100EEvPKT0_PS1_S1_
; %bb.0:
	s_load_dword s0, s[4:5], 0x24
	s_load_dwordx4 s[8:11], s[4:5], 0x0
	v_mbcnt_lo_u32_b32 v2, -1, 0
	v_mbcnt_hi_u32_b32 v2, -1, v2
	v_and_b32_e32 v3, 15, v2
	s_waitcnt lgkmcnt(0)
	s_and_b32 s0, s0, 0xffff
	s_mul_i32 s6, s6, s0
	v_add_u32_e32 v0, s6, v0
	global_load_ubyte v1, v0, s[8:9]
	v_and_b32_e32 v2, 16, v2
	v_cmp_eq_u32_e32 vcc, 0, v3
	v_cmp_lt_u32_e64 s[0:1], 1, v3
	v_cmp_lt_u32_e64 s[2:3], 3, v3
	;; [unrolled: 1-line block ×3, first 2 shown]
	v_cmp_eq_u32_e64 s[6:7], 0, v2
	s_movk_i32 s8, 0x64
.LBB27_1:                               ; =>This Inner Loop Header: Depth=1
	s_waitcnt vmcnt(0)
	v_and_b32_e32 v2, 0xff, v1
	s_add_i32 s8, s8, -1
	s_cmp_lg_u32 s8, 0
	v_mov_b32_dpp v2, v2 row_shr:1 row_mask:0xf bank_mask:0xf
	v_cndmask_b32_e64 v2, v2, 0, vcc
	v_add_u16_e32 v1, v2, v1
	v_and_b32_e32 v2, 0xff, v1
	s_nop 1
	v_mov_b32_dpp v2, v2 row_shr:2 row_mask:0xf bank_mask:0xf
	v_cndmask_b32_e64 v2, 0, v2, s[0:1]
	v_add_u16_e32 v1, v1, v2
	v_and_b32_e32 v2, 0xff, v1
	s_nop 1
	v_mov_b32_dpp v2, v2 row_shr:4 row_mask:0xf bank_mask:0xf
	v_cndmask_b32_e64 v2, 0, v2, s[2:3]
	;; [unrolled: 5-line block ×3, first 2 shown]
	v_add_u16_e32 v1, v1, v2
	v_and_b32_e32 v2, 0xff, v1
	s_nop 1
	v_mov_b32_dpp v2, v2 row_bcast:15 row_mask:0xf bank_mask:0xf
	v_cndmask_b32_e64 v2, v2, 0, s[6:7]
	v_add_u16_e32 v1, v1, v2
	s_cbranch_scc1 .LBB27_1
; %bb.2:
	v_mov_b32_e32 v3, s11
	v_add_co_u32_e32 v2, vcc, s10, v0
	v_addc_co_u32_e32 v3, vcc, 0, v3, vcc
	global_store_byte v[2:3], v1, off
	s_endpgm
	.section	.rodata,"a",@progbits
	.p2align	6, 0x0
	.amdhsa_kernel _Z6kernelI14inclusive_scanaLj256ELj32ELj100EEvPKT0_PS1_S1_
		.amdhsa_group_segment_fixed_size 0
		.amdhsa_private_segment_fixed_size 0
		.amdhsa_kernarg_size 280
		.amdhsa_user_sgpr_count 6
		.amdhsa_user_sgpr_private_segment_buffer 1
		.amdhsa_user_sgpr_dispatch_ptr 0
		.amdhsa_user_sgpr_queue_ptr 0
		.amdhsa_user_sgpr_kernarg_segment_ptr 1
		.amdhsa_user_sgpr_dispatch_id 0
		.amdhsa_user_sgpr_flat_scratch_init 0
		.amdhsa_user_sgpr_private_segment_size 0
		.amdhsa_uses_dynamic_stack 0
		.amdhsa_system_sgpr_private_segment_wavefront_offset 0
		.amdhsa_system_sgpr_workgroup_id_x 1
		.amdhsa_system_sgpr_workgroup_id_y 0
		.amdhsa_system_sgpr_workgroup_id_z 0
		.amdhsa_system_sgpr_workgroup_info 0
		.amdhsa_system_vgpr_workitem_id 0
		.amdhsa_next_free_vgpr 4
		.amdhsa_next_free_sgpr 12
		.amdhsa_reserve_vcc 1
		.amdhsa_reserve_flat_scratch 0
		.amdhsa_float_round_mode_32 0
		.amdhsa_float_round_mode_16_64 0
		.amdhsa_float_denorm_mode_32 3
		.amdhsa_float_denorm_mode_16_64 3
		.amdhsa_dx10_clamp 1
		.amdhsa_ieee_mode 1
		.amdhsa_fp16_overflow 0
		.amdhsa_exception_fp_ieee_invalid_op 0
		.amdhsa_exception_fp_denorm_src 0
		.amdhsa_exception_fp_ieee_div_zero 0
		.amdhsa_exception_fp_ieee_overflow 0
		.amdhsa_exception_fp_ieee_underflow 0
		.amdhsa_exception_fp_ieee_inexact 0
		.amdhsa_exception_int_div_zero 0
	.end_amdhsa_kernel
	.section	.text._Z6kernelI14inclusive_scanaLj256ELj32ELj100EEvPKT0_PS1_S1_,"axG",@progbits,_Z6kernelI14inclusive_scanaLj256ELj32ELj100EEvPKT0_PS1_S1_,comdat
.Lfunc_end27:
	.size	_Z6kernelI14inclusive_scanaLj256ELj32ELj100EEvPKT0_PS1_S1_, .Lfunc_end27-_Z6kernelI14inclusive_scanaLj256ELj32ELj100EEvPKT0_PS1_S1_
                                        ; -- End function
	.set _Z6kernelI14inclusive_scanaLj256ELj32ELj100EEvPKT0_PS1_S1_.num_vgpr, 4
	.set _Z6kernelI14inclusive_scanaLj256ELj32ELj100EEvPKT0_PS1_S1_.num_agpr, 0
	.set _Z6kernelI14inclusive_scanaLj256ELj32ELj100EEvPKT0_PS1_S1_.numbered_sgpr, 12
	.set _Z6kernelI14inclusive_scanaLj256ELj32ELj100EEvPKT0_PS1_S1_.num_named_barrier, 0
	.set _Z6kernelI14inclusive_scanaLj256ELj32ELj100EEvPKT0_PS1_S1_.private_seg_size, 0
	.set _Z6kernelI14inclusive_scanaLj256ELj32ELj100EEvPKT0_PS1_S1_.uses_vcc, 1
	.set _Z6kernelI14inclusive_scanaLj256ELj32ELj100EEvPKT0_PS1_S1_.uses_flat_scratch, 0
	.set _Z6kernelI14inclusive_scanaLj256ELj32ELj100EEvPKT0_PS1_S1_.has_dyn_sized_stack, 0
	.set _Z6kernelI14inclusive_scanaLj256ELj32ELj100EEvPKT0_PS1_S1_.has_recursion, 0
	.set _Z6kernelI14inclusive_scanaLj256ELj32ELj100EEvPKT0_PS1_S1_.has_indirect_call, 0
	.section	.AMDGPU.csdata,"",@progbits
; Kernel info:
; codeLenInByte = 304
; TotalNumSgprs: 16
; NumVgprs: 4
; ScratchSize: 0
; MemoryBound: 0
; FloatMode: 240
; IeeeMode: 1
; LDSByteSize: 0 bytes/workgroup (compile time only)
; SGPRBlocks: 1
; VGPRBlocks: 0
; NumSGPRsForWavesPerEU: 16
; NumVGPRsForWavesPerEU: 4
; Occupancy: 10
; WaveLimiterHint : 0
; COMPUTE_PGM_RSRC2:SCRATCH_EN: 0
; COMPUTE_PGM_RSRC2:USER_SGPR: 6
; COMPUTE_PGM_RSRC2:TRAP_HANDLER: 0
; COMPUTE_PGM_RSRC2:TGID_X_EN: 1
; COMPUTE_PGM_RSRC2:TGID_Y_EN: 0
; COMPUTE_PGM_RSRC2:TGID_Z_EN: 0
; COMPUTE_PGM_RSRC2:TIDIG_COMP_CNT: 0
	.section	.text._Z6kernelI14inclusive_scanaLj63ELj63ELj100EEvPKT0_PS1_S1_,"axG",@progbits,_Z6kernelI14inclusive_scanaLj63ELj63ELj100EEvPKT0_PS1_S1_,comdat
	.protected	_Z6kernelI14inclusive_scanaLj63ELj63ELj100EEvPKT0_PS1_S1_ ; -- Begin function _Z6kernelI14inclusive_scanaLj63ELj63ELj100EEvPKT0_PS1_S1_
	.globl	_Z6kernelI14inclusive_scanaLj63ELj63ELj100EEvPKT0_PS1_S1_
	.p2align	8
	.type	_Z6kernelI14inclusive_scanaLj63ELj63ELj100EEvPKT0_PS1_S1_,@function
_Z6kernelI14inclusive_scanaLj63ELj63ELj100EEvPKT0_PS1_S1_: ; @_Z6kernelI14inclusive_scanaLj63ELj63ELj100EEvPKT0_PS1_S1_
; %bb.0:
	s_load_dword s0, s[4:5], 0x24
	s_load_dwordx4 s[8:11], s[4:5], 0x0
	v_mbcnt_lo_u32_b32 v2, -1, 0
	v_mbcnt_hi_u32_b32 v2, -1, v2
	s_movk_i32 s14, 0x64
	s_waitcnt lgkmcnt(0)
	s_and_b32 s0, s0, 0xffff
	s_mul_i32 s6, s6, s0
	v_add_u32_e32 v1, s6, v0
	global_load_ubyte v0, v1, s[8:9]
	s_mov_b32 s0, 0x4104105
	v_mul_hi_u32 v3, v2, s0
	v_mul_u32_u24_e32 v3, 63, v3
	v_sub_u32_e32 v2, v2, v3
	v_cmp_ne_u32_e32 vcc, 0, v2
	v_cmp_lt_u32_e64 s[0:1], 1, v2
	v_cmp_lt_u32_e64 s[2:3], 3, v2
	;; [unrolled: 1-line block ×5, first 2 shown]
	v_add_u32_e32 v3, -1, v2
	v_add_u32_e32 v4, -2, v2
	;; [unrolled: 1-line block ×5, first 2 shown]
	v_subrev_u32_e32 v8, 32, v2
	s_branch .LBB28_2
.LBB28_1:                               ;   in Loop: Header=BB28_2 Depth=1
	s_or_b64 exec, exec, s[12:13]
	s_add_i32 s14, s14, -1
	s_cmp_lg_u32 s14, 0
	; wave barrier
	s_cbranch_scc0 .LBB28_26
.LBB28_2:                               ; =>This Inner Loop Header: Depth=1
	s_waitcnt vmcnt(0)
	ds_write_b8 v2, v0
	; wave barrier
	s_and_saveexec_b64 s[12:13], vcc
	s_cbranch_execz .LBB28_4
; %bb.3:                                ;   in Loop: Header=BB28_2 Depth=1
	ds_read_u8 v9, v3
	s_waitcnt lgkmcnt(0)
	v_add_u16_e32 v0, v9, v0
.LBB28_4:                               ;   in Loop: Header=BB28_2 Depth=1
	s_or_b64 exec, exec, s[12:13]
	; wave barrier
	s_and_saveexec_b64 s[12:13], vcc
; %bb.5:                                ;   in Loop: Header=BB28_2 Depth=1
	ds_write_b8 v2, v0
; %bb.6:                                ;   in Loop: Header=BB28_2 Depth=1
	s_or_b64 exec, exec, s[12:13]
	; wave barrier
	s_and_saveexec_b64 s[12:13], s[0:1]
	s_cbranch_execz .LBB28_8
; %bb.7:                                ;   in Loop: Header=BB28_2 Depth=1
	ds_read_u8 v9, v4
	s_waitcnt lgkmcnt(0)
	v_add_u16_e32 v0, v9, v0
.LBB28_8:                               ;   in Loop: Header=BB28_2 Depth=1
	s_or_b64 exec, exec, s[12:13]
	; wave barrier
	s_and_saveexec_b64 s[12:13], s[0:1]
; %bb.9:                                ;   in Loop: Header=BB28_2 Depth=1
	ds_write_b8 v2, v0
; %bb.10:                               ;   in Loop: Header=BB28_2 Depth=1
	s_or_b64 exec, exec, s[12:13]
	; wave barrier
	s_and_saveexec_b64 s[12:13], s[2:3]
	s_cbranch_execz .LBB28_12
; %bb.11:                               ;   in Loop: Header=BB28_2 Depth=1
	ds_read_u8 v9, v5
	s_waitcnt lgkmcnt(0)
	v_add_u16_e32 v0, v9, v0
.LBB28_12:                              ;   in Loop: Header=BB28_2 Depth=1
	s_or_b64 exec, exec, s[12:13]
	; wave barrier
	s_and_saveexec_b64 s[12:13], s[2:3]
; %bb.13:                               ;   in Loop: Header=BB28_2 Depth=1
	ds_write_b8 v2, v0
; %bb.14:                               ;   in Loop: Header=BB28_2 Depth=1
	s_or_b64 exec, exec, s[12:13]
	; wave barrier
	s_and_saveexec_b64 s[12:13], s[4:5]
	s_cbranch_execz .LBB28_16
; %bb.15:                               ;   in Loop: Header=BB28_2 Depth=1
	ds_read_u8 v9, v6
	s_waitcnt lgkmcnt(0)
	v_add_u16_e32 v0, v9, v0
.LBB28_16:                              ;   in Loop: Header=BB28_2 Depth=1
	s_or_b64 exec, exec, s[12:13]
	; wave barrier
	s_and_saveexec_b64 s[12:13], s[4:5]
; %bb.17:                               ;   in Loop: Header=BB28_2 Depth=1
	;; [unrolled: 15-line block ×3, first 2 shown]
	ds_write_b8 v2, v0
; %bb.22:                               ;   in Loop: Header=BB28_2 Depth=1
	s_or_b64 exec, exec, s[12:13]
	; wave barrier
	s_and_saveexec_b64 s[12:13], s[8:9]
	s_cbranch_execz .LBB28_24
; %bb.23:                               ;   in Loop: Header=BB28_2 Depth=1
	ds_read_u8 v9, v8
	s_waitcnt lgkmcnt(0)
	v_add_u16_e32 v0, v9, v0
.LBB28_24:                              ;   in Loop: Header=BB28_2 Depth=1
	s_or_b64 exec, exec, s[12:13]
	; wave barrier
	s_and_saveexec_b64 s[12:13], s[8:9]
	s_cbranch_execz .LBB28_1
; %bb.25:                               ;   in Loop: Header=BB28_2 Depth=1
	ds_write_b8 v2, v0
	s_branch .LBB28_1
.LBB28_26:
	v_mov_b32_e32 v2, s11
	v_add_co_u32_e32 v1, vcc, s10, v1
	v_addc_co_u32_e32 v2, vcc, 0, v2, vcc
	global_store_byte v[1:2], v0, off
	s_endpgm
	.section	.rodata,"a",@progbits
	.p2align	6, 0x0
	.amdhsa_kernel _Z6kernelI14inclusive_scanaLj63ELj63ELj100EEvPKT0_PS1_S1_
		.amdhsa_group_segment_fixed_size 63
		.amdhsa_private_segment_fixed_size 0
		.amdhsa_kernarg_size 280
		.amdhsa_user_sgpr_count 6
		.amdhsa_user_sgpr_private_segment_buffer 1
		.amdhsa_user_sgpr_dispatch_ptr 0
		.amdhsa_user_sgpr_queue_ptr 0
		.amdhsa_user_sgpr_kernarg_segment_ptr 1
		.amdhsa_user_sgpr_dispatch_id 0
		.amdhsa_user_sgpr_flat_scratch_init 0
		.amdhsa_user_sgpr_private_segment_size 0
		.amdhsa_uses_dynamic_stack 0
		.amdhsa_system_sgpr_private_segment_wavefront_offset 0
		.amdhsa_system_sgpr_workgroup_id_x 1
		.amdhsa_system_sgpr_workgroup_id_y 0
		.amdhsa_system_sgpr_workgroup_id_z 0
		.amdhsa_system_sgpr_workgroup_info 0
		.amdhsa_system_vgpr_workitem_id 0
		.amdhsa_next_free_vgpr 10
		.amdhsa_next_free_sgpr 15
		.amdhsa_reserve_vcc 1
		.amdhsa_reserve_flat_scratch 0
		.amdhsa_float_round_mode_32 0
		.amdhsa_float_round_mode_16_64 0
		.amdhsa_float_denorm_mode_32 3
		.amdhsa_float_denorm_mode_16_64 3
		.amdhsa_dx10_clamp 1
		.amdhsa_ieee_mode 1
		.amdhsa_fp16_overflow 0
		.amdhsa_exception_fp_ieee_invalid_op 0
		.amdhsa_exception_fp_denorm_src 0
		.amdhsa_exception_fp_ieee_div_zero 0
		.amdhsa_exception_fp_ieee_overflow 0
		.amdhsa_exception_fp_ieee_underflow 0
		.amdhsa_exception_fp_ieee_inexact 0
		.amdhsa_exception_int_div_zero 0
	.end_amdhsa_kernel
	.section	.text._Z6kernelI14inclusive_scanaLj63ELj63ELj100EEvPKT0_PS1_S1_,"axG",@progbits,_Z6kernelI14inclusive_scanaLj63ELj63ELj100EEvPKT0_PS1_S1_,comdat
.Lfunc_end28:
	.size	_Z6kernelI14inclusive_scanaLj63ELj63ELj100EEvPKT0_PS1_S1_, .Lfunc_end28-_Z6kernelI14inclusive_scanaLj63ELj63ELj100EEvPKT0_PS1_S1_
                                        ; -- End function
	.set _Z6kernelI14inclusive_scanaLj63ELj63ELj100EEvPKT0_PS1_S1_.num_vgpr, 10
	.set _Z6kernelI14inclusive_scanaLj63ELj63ELj100EEvPKT0_PS1_S1_.num_agpr, 0
	.set _Z6kernelI14inclusive_scanaLj63ELj63ELj100EEvPKT0_PS1_S1_.numbered_sgpr, 15
	.set _Z6kernelI14inclusive_scanaLj63ELj63ELj100EEvPKT0_PS1_S1_.num_named_barrier, 0
	.set _Z6kernelI14inclusive_scanaLj63ELj63ELj100EEvPKT0_PS1_S1_.private_seg_size, 0
	.set _Z6kernelI14inclusive_scanaLj63ELj63ELj100EEvPKT0_PS1_S1_.uses_vcc, 1
	.set _Z6kernelI14inclusive_scanaLj63ELj63ELj100EEvPKT0_PS1_S1_.uses_flat_scratch, 0
	.set _Z6kernelI14inclusive_scanaLj63ELj63ELj100EEvPKT0_PS1_S1_.has_dyn_sized_stack, 0
	.set _Z6kernelI14inclusive_scanaLj63ELj63ELj100EEvPKT0_PS1_S1_.has_recursion, 0
	.set _Z6kernelI14inclusive_scanaLj63ELj63ELj100EEvPKT0_PS1_S1_.has_indirect_call, 0
	.section	.AMDGPU.csdata,"",@progbits
; Kernel info:
; codeLenInByte = 480
; TotalNumSgprs: 19
; NumVgprs: 10
; ScratchSize: 0
; MemoryBound: 0
; FloatMode: 240
; IeeeMode: 1
; LDSByteSize: 63 bytes/workgroup (compile time only)
; SGPRBlocks: 2
; VGPRBlocks: 2
; NumSGPRsForWavesPerEU: 19
; NumVGPRsForWavesPerEU: 10
; Occupancy: 10
; WaveLimiterHint : 0
; COMPUTE_PGM_RSRC2:SCRATCH_EN: 0
; COMPUTE_PGM_RSRC2:USER_SGPR: 6
; COMPUTE_PGM_RSRC2:TRAP_HANDLER: 0
; COMPUTE_PGM_RSRC2:TGID_X_EN: 1
; COMPUTE_PGM_RSRC2:TGID_Y_EN: 0
; COMPUTE_PGM_RSRC2:TGID_Z_EN: 0
; COMPUTE_PGM_RSRC2:TIDIG_COMP_CNT: 0
	.section	.text._Z6kernelI14inclusive_scanaLj64ELj64ELj100EEvPKT0_PS1_S1_,"axG",@progbits,_Z6kernelI14inclusive_scanaLj64ELj64ELj100EEvPKT0_PS1_S1_,comdat
	.protected	_Z6kernelI14inclusive_scanaLj64ELj64ELj100EEvPKT0_PS1_S1_ ; -- Begin function _Z6kernelI14inclusive_scanaLj64ELj64ELj100EEvPKT0_PS1_S1_
	.globl	_Z6kernelI14inclusive_scanaLj64ELj64ELj100EEvPKT0_PS1_S1_
	.p2align	8
	.type	_Z6kernelI14inclusive_scanaLj64ELj64ELj100EEvPKT0_PS1_S1_,@function
_Z6kernelI14inclusive_scanaLj64ELj64ELj100EEvPKT0_PS1_S1_: ; @_Z6kernelI14inclusive_scanaLj64ELj64ELj100EEvPKT0_PS1_S1_
; %bb.0:
	s_load_dword s0, s[4:5], 0x24
	s_load_dwordx4 s[8:11], s[4:5], 0x0
	v_mbcnt_lo_u32_b32 v2, -1, 0
	v_mbcnt_hi_u32_b32 v2, -1, v2
	v_and_b32_e32 v3, 15, v2
	s_waitcnt lgkmcnt(0)
	s_and_b32 s0, s0, 0xffff
	s_mul_i32 s6, s6, s0
	v_add_u32_e32 v0, s6, v0
	global_load_ubyte v1, v0, s[8:9]
	v_cmp_eq_u32_e32 vcc, 0, v3
	v_cmp_lt_u32_e64 s[0:1], 1, v3
	v_cmp_lt_u32_e64 s[2:3], 3, v3
	;; [unrolled: 1-line block ×3, first 2 shown]
	v_and_b32_e32 v3, 16, v2
	v_cmp_eq_u32_e64 s[6:7], 0, v3
	v_cmp_lt_u32_e64 s[8:9], 31, v2
	s_movk_i32 s12, 0x64
.LBB29_1:                               ; =>This Inner Loop Header: Depth=1
	s_waitcnt vmcnt(0)
	v_and_b32_e32 v2, 0xff, v1
	s_add_i32 s12, s12, -1
	s_cmp_lg_u32 s12, 0
	v_mov_b32_dpp v2, v2 row_shr:1 row_mask:0xf bank_mask:0xf
	v_cndmask_b32_e64 v2, v2, 0, vcc
	v_add_u16_e32 v1, v2, v1
	v_and_b32_e32 v2, 0xff, v1
	s_nop 1
	v_mov_b32_dpp v2, v2 row_shr:2 row_mask:0xf bank_mask:0xf
	v_cndmask_b32_e64 v2, 0, v2, s[0:1]
	v_add_u16_e32 v1, v1, v2
	v_and_b32_e32 v2, 0xff, v1
	s_nop 1
	v_mov_b32_dpp v2, v2 row_shr:4 row_mask:0xf bank_mask:0xf
	v_cndmask_b32_e64 v2, 0, v2, s[2:3]
	v_add_u16_e32 v1, v1, v2
	v_and_b32_e32 v2, 0xff, v1
	s_nop 1
	v_mov_b32_dpp v2, v2 row_shr:8 row_mask:0xf bank_mask:0xf
	v_cndmask_b32_e64 v2, 0, v2, s[4:5]
	v_add_u16_e32 v1, v1, v2
	v_and_b32_e32 v2, 0xff, v1
	s_nop 1
	v_mov_b32_dpp v2, v2 row_bcast:15 row_mask:0xf bank_mask:0xf
	v_cndmask_b32_e64 v2, v2, 0, s[6:7]
	v_add_u16_e32 v1, v1, v2
	v_and_b32_e32 v2, 0xff, v1
	s_nop 1
	v_mov_b32_dpp v2, v2 row_bcast:31 row_mask:0xf bank_mask:0xf
	v_cndmask_b32_e64 v2, 0, v2, s[8:9]
	v_add_u16_e32 v1, v1, v2
	s_cbranch_scc1 .LBB29_1
; %bb.2:
	v_mov_b32_e32 v3, s11
	v_add_co_u32_e32 v2, vcc, s10, v0
	v_addc_co_u32_e32 v3, vcc, 0, v3, vcc
	global_store_byte v[2:3], v1, off
	s_endpgm
	.section	.rodata,"a",@progbits
	.p2align	6, 0x0
	.amdhsa_kernel _Z6kernelI14inclusive_scanaLj64ELj64ELj100EEvPKT0_PS1_S1_
		.amdhsa_group_segment_fixed_size 0
		.amdhsa_private_segment_fixed_size 0
		.amdhsa_kernarg_size 280
		.amdhsa_user_sgpr_count 6
		.amdhsa_user_sgpr_private_segment_buffer 1
		.amdhsa_user_sgpr_dispatch_ptr 0
		.amdhsa_user_sgpr_queue_ptr 0
		.amdhsa_user_sgpr_kernarg_segment_ptr 1
		.amdhsa_user_sgpr_dispatch_id 0
		.amdhsa_user_sgpr_flat_scratch_init 0
		.amdhsa_user_sgpr_private_segment_size 0
		.amdhsa_uses_dynamic_stack 0
		.amdhsa_system_sgpr_private_segment_wavefront_offset 0
		.amdhsa_system_sgpr_workgroup_id_x 1
		.amdhsa_system_sgpr_workgroup_id_y 0
		.amdhsa_system_sgpr_workgroup_id_z 0
		.amdhsa_system_sgpr_workgroup_info 0
		.amdhsa_system_vgpr_workitem_id 0
		.amdhsa_next_free_vgpr 4
		.amdhsa_next_free_sgpr 13
		.amdhsa_reserve_vcc 1
		.amdhsa_reserve_flat_scratch 0
		.amdhsa_float_round_mode_32 0
		.amdhsa_float_round_mode_16_64 0
		.amdhsa_float_denorm_mode_32 3
		.amdhsa_float_denorm_mode_16_64 3
		.amdhsa_dx10_clamp 1
		.amdhsa_ieee_mode 1
		.amdhsa_fp16_overflow 0
		.amdhsa_exception_fp_ieee_invalid_op 0
		.amdhsa_exception_fp_denorm_src 0
		.amdhsa_exception_fp_ieee_div_zero 0
		.amdhsa_exception_fp_ieee_overflow 0
		.amdhsa_exception_fp_ieee_underflow 0
		.amdhsa_exception_fp_ieee_inexact 0
		.amdhsa_exception_int_div_zero 0
	.end_amdhsa_kernel
	.section	.text._Z6kernelI14inclusive_scanaLj64ELj64ELj100EEvPKT0_PS1_S1_,"axG",@progbits,_Z6kernelI14inclusive_scanaLj64ELj64ELj100EEvPKT0_PS1_S1_,comdat
.Lfunc_end29:
	.size	_Z6kernelI14inclusive_scanaLj64ELj64ELj100EEvPKT0_PS1_S1_, .Lfunc_end29-_Z6kernelI14inclusive_scanaLj64ELj64ELj100EEvPKT0_PS1_S1_
                                        ; -- End function
	.set _Z6kernelI14inclusive_scanaLj64ELj64ELj100EEvPKT0_PS1_S1_.num_vgpr, 4
	.set _Z6kernelI14inclusive_scanaLj64ELj64ELj100EEvPKT0_PS1_S1_.num_agpr, 0
	.set _Z6kernelI14inclusive_scanaLj64ELj64ELj100EEvPKT0_PS1_S1_.numbered_sgpr, 13
	.set _Z6kernelI14inclusive_scanaLj64ELj64ELj100EEvPKT0_PS1_S1_.num_named_barrier, 0
	.set _Z6kernelI14inclusive_scanaLj64ELj64ELj100EEvPKT0_PS1_S1_.private_seg_size, 0
	.set _Z6kernelI14inclusive_scanaLj64ELj64ELj100EEvPKT0_PS1_S1_.uses_vcc, 1
	.set _Z6kernelI14inclusive_scanaLj64ELj64ELj100EEvPKT0_PS1_S1_.uses_flat_scratch, 0
	.set _Z6kernelI14inclusive_scanaLj64ELj64ELj100EEvPKT0_PS1_S1_.has_dyn_sized_stack, 0
	.set _Z6kernelI14inclusive_scanaLj64ELj64ELj100EEvPKT0_PS1_S1_.has_recursion, 0
	.set _Z6kernelI14inclusive_scanaLj64ELj64ELj100EEvPKT0_PS1_S1_.has_indirect_call, 0
	.section	.AMDGPU.csdata,"",@progbits
; Kernel info:
; codeLenInByte = 344
; TotalNumSgprs: 17
; NumVgprs: 4
; ScratchSize: 0
; MemoryBound: 0
; FloatMode: 240
; IeeeMode: 1
; LDSByteSize: 0 bytes/workgroup (compile time only)
; SGPRBlocks: 2
; VGPRBlocks: 0
; NumSGPRsForWavesPerEU: 17
; NumVGPRsForWavesPerEU: 4
; Occupancy: 10
; WaveLimiterHint : 0
; COMPUTE_PGM_RSRC2:SCRATCH_EN: 0
; COMPUTE_PGM_RSRC2:USER_SGPR: 6
; COMPUTE_PGM_RSRC2:TRAP_HANDLER: 0
; COMPUTE_PGM_RSRC2:TGID_X_EN: 1
; COMPUTE_PGM_RSRC2:TGID_Y_EN: 0
; COMPUTE_PGM_RSRC2:TGID_Z_EN: 0
; COMPUTE_PGM_RSRC2:TIDIG_COMP_CNT: 0
	.section	.text._Z6kernelI14inclusive_scanaLj128ELj64ELj100EEvPKT0_PS1_S1_,"axG",@progbits,_Z6kernelI14inclusive_scanaLj128ELj64ELj100EEvPKT0_PS1_S1_,comdat
	.protected	_Z6kernelI14inclusive_scanaLj128ELj64ELj100EEvPKT0_PS1_S1_ ; -- Begin function _Z6kernelI14inclusive_scanaLj128ELj64ELj100EEvPKT0_PS1_S1_
	.globl	_Z6kernelI14inclusive_scanaLj128ELj64ELj100EEvPKT0_PS1_S1_
	.p2align	8
	.type	_Z6kernelI14inclusive_scanaLj128ELj64ELj100EEvPKT0_PS1_S1_,@function
_Z6kernelI14inclusive_scanaLj128ELj64ELj100EEvPKT0_PS1_S1_: ; @_Z6kernelI14inclusive_scanaLj128ELj64ELj100EEvPKT0_PS1_S1_
; %bb.0:
	s_load_dword s0, s[4:5], 0x24
	s_load_dwordx4 s[8:11], s[4:5], 0x0
	v_mbcnt_lo_u32_b32 v2, -1, 0
	v_mbcnt_hi_u32_b32 v2, -1, v2
	v_and_b32_e32 v3, 15, v2
	s_waitcnt lgkmcnt(0)
	s_and_b32 s0, s0, 0xffff
	s_mul_i32 s6, s6, s0
	v_add_u32_e32 v0, s6, v0
	global_load_ubyte v1, v0, s[8:9]
	v_cmp_eq_u32_e32 vcc, 0, v3
	v_cmp_lt_u32_e64 s[0:1], 1, v3
	v_cmp_lt_u32_e64 s[2:3], 3, v3
	;; [unrolled: 1-line block ×3, first 2 shown]
	v_and_b32_e32 v3, 16, v2
	v_cmp_eq_u32_e64 s[6:7], 0, v3
	v_cmp_lt_u32_e64 s[8:9], 31, v2
	s_movk_i32 s12, 0x64
.LBB30_1:                               ; =>This Inner Loop Header: Depth=1
	s_waitcnt vmcnt(0)
	v_and_b32_e32 v2, 0xff, v1
	s_add_i32 s12, s12, -1
	s_cmp_lg_u32 s12, 0
	v_mov_b32_dpp v2, v2 row_shr:1 row_mask:0xf bank_mask:0xf
	v_cndmask_b32_e64 v2, v2, 0, vcc
	v_add_u16_e32 v1, v2, v1
	v_and_b32_e32 v2, 0xff, v1
	s_nop 1
	v_mov_b32_dpp v2, v2 row_shr:2 row_mask:0xf bank_mask:0xf
	v_cndmask_b32_e64 v2, 0, v2, s[0:1]
	v_add_u16_e32 v1, v1, v2
	v_and_b32_e32 v2, 0xff, v1
	s_nop 1
	v_mov_b32_dpp v2, v2 row_shr:4 row_mask:0xf bank_mask:0xf
	v_cndmask_b32_e64 v2, 0, v2, s[2:3]
	;; [unrolled: 5-line block ×3, first 2 shown]
	v_add_u16_e32 v1, v1, v2
	v_and_b32_e32 v2, 0xff, v1
	s_nop 1
	v_mov_b32_dpp v2, v2 row_bcast:15 row_mask:0xf bank_mask:0xf
	v_cndmask_b32_e64 v2, v2, 0, s[6:7]
	v_add_u16_e32 v1, v1, v2
	v_and_b32_e32 v2, 0xff, v1
	s_nop 1
	v_mov_b32_dpp v2, v2 row_bcast:31 row_mask:0xf bank_mask:0xf
	v_cndmask_b32_e64 v2, 0, v2, s[8:9]
	v_add_u16_e32 v1, v1, v2
	s_cbranch_scc1 .LBB30_1
; %bb.2:
	v_mov_b32_e32 v3, s11
	v_add_co_u32_e32 v2, vcc, s10, v0
	v_addc_co_u32_e32 v3, vcc, 0, v3, vcc
	global_store_byte v[2:3], v1, off
	s_endpgm
	.section	.rodata,"a",@progbits
	.p2align	6, 0x0
	.amdhsa_kernel _Z6kernelI14inclusive_scanaLj128ELj64ELj100EEvPKT0_PS1_S1_
		.amdhsa_group_segment_fixed_size 0
		.amdhsa_private_segment_fixed_size 0
		.amdhsa_kernarg_size 280
		.amdhsa_user_sgpr_count 6
		.amdhsa_user_sgpr_private_segment_buffer 1
		.amdhsa_user_sgpr_dispatch_ptr 0
		.amdhsa_user_sgpr_queue_ptr 0
		.amdhsa_user_sgpr_kernarg_segment_ptr 1
		.amdhsa_user_sgpr_dispatch_id 0
		.amdhsa_user_sgpr_flat_scratch_init 0
		.amdhsa_user_sgpr_private_segment_size 0
		.amdhsa_uses_dynamic_stack 0
		.amdhsa_system_sgpr_private_segment_wavefront_offset 0
		.amdhsa_system_sgpr_workgroup_id_x 1
		.amdhsa_system_sgpr_workgroup_id_y 0
		.amdhsa_system_sgpr_workgroup_id_z 0
		.amdhsa_system_sgpr_workgroup_info 0
		.amdhsa_system_vgpr_workitem_id 0
		.amdhsa_next_free_vgpr 4
		.amdhsa_next_free_sgpr 13
		.amdhsa_reserve_vcc 1
		.amdhsa_reserve_flat_scratch 0
		.amdhsa_float_round_mode_32 0
		.amdhsa_float_round_mode_16_64 0
		.amdhsa_float_denorm_mode_32 3
		.amdhsa_float_denorm_mode_16_64 3
		.amdhsa_dx10_clamp 1
		.amdhsa_ieee_mode 1
		.amdhsa_fp16_overflow 0
		.amdhsa_exception_fp_ieee_invalid_op 0
		.amdhsa_exception_fp_denorm_src 0
		.amdhsa_exception_fp_ieee_div_zero 0
		.amdhsa_exception_fp_ieee_overflow 0
		.amdhsa_exception_fp_ieee_underflow 0
		.amdhsa_exception_fp_ieee_inexact 0
		.amdhsa_exception_int_div_zero 0
	.end_amdhsa_kernel
	.section	.text._Z6kernelI14inclusive_scanaLj128ELj64ELj100EEvPKT0_PS1_S1_,"axG",@progbits,_Z6kernelI14inclusive_scanaLj128ELj64ELj100EEvPKT0_PS1_S1_,comdat
.Lfunc_end30:
	.size	_Z6kernelI14inclusive_scanaLj128ELj64ELj100EEvPKT0_PS1_S1_, .Lfunc_end30-_Z6kernelI14inclusive_scanaLj128ELj64ELj100EEvPKT0_PS1_S1_
                                        ; -- End function
	.set _Z6kernelI14inclusive_scanaLj128ELj64ELj100EEvPKT0_PS1_S1_.num_vgpr, 4
	.set _Z6kernelI14inclusive_scanaLj128ELj64ELj100EEvPKT0_PS1_S1_.num_agpr, 0
	.set _Z6kernelI14inclusive_scanaLj128ELj64ELj100EEvPKT0_PS1_S1_.numbered_sgpr, 13
	.set _Z6kernelI14inclusive_scanaLj128ELj64ELj100EEvPKT0_PS1_S1_.num_named_barrier, 0
	.set _Z6kernelI14inclusive_scanaLj128ELj64ELj100EEvPKT0_PS1_S1_.private_seg_size, 0
	.set _Z6kernelI14inclusive_scanaLj128ELj64ELj100EEvPKT0_PS1_S1_.uses_vcc, 1
	.set _Z6kernelI14inclusive_scanaLj128ELj64ELj100EEvPKT0_PS1_S1_.uses_flat_scratch, 0
	.set _Z6kernelI14inclusive_scanaLj128ELj64ELj100EEvPKT0_PS1_S1_.has_dyn_sized_stack, 0
	.set _Z6kernelI14inclusive_scanaLj128ELj64ELj100EEvPKT0_PS1_S1_.has_recursion, 0
	.set _Z6kernelI14inclusive_scanaLj128ELj64ELj100EEvPKT0_PS1_S1_.has_indirect_call, 0
	.section	.AMDGPU.csdata,"",@progbits
; Kernel info:
; codeLenInByte = 344
; TotalNumSgprs: 17
; NumVgprs: 4
; ScratchSize: 0
; MemoryBound: 0
; FloatMode: 240
; IeeeMode: 1
; LDSByteSize: 0 bytes/workgroup (compile time only)
; SGPRBlocks: 2
; VGPRBlocks: 0
; NumSGPRsForWavesPerEU: 17
; NumVGPRsForWavesPerEU: 4
; Occupancy: 10
; WaveLimiterHint : 0
; COMPUTE_PGM_RSRC2:SCRATCH_EN: 0
; COMPUTE_PGM_RSRC2:USER_SGPR: 6
; COMPUTE_PGM_RSRC2:TRAP_HANDLER: 0
; COMPUTE_PGM_RSRC2:TGID_X_EN: 1
; COMPUTE_PGM_RSRC2:TGID_Y_EN: 0
; COMPUTE_PGM_RSRC2:TGID_Z_EN: 0
; COMPUTE_PGM_RSRC2:TIDIG_COMP_CNT: 0
	.section	.text._Z6kernelI14inclusive_scanaLj256ELj64ELj100EEvPKT0_PS1_S1_,"axG",@progbits,_Z6kernelI14inclusive_scanaLj256ELj64ELj100EEvPKT0_PS1_S1_,comdat
	.protected	_Z6kernelI14inclusive_scanaLj256ELj64ELj100EEvPKT0_PS1_S1_ ; -- Begin function _Z6kernelI14inclusive_scanaLj256ELj64ELj100EEvPKT0_PS1_S1_
	.globl	_Z6kernelI14inclusive_scanaLj256ELj64ELj100EEvPKT0_PS1_S1_
	.p2align	8
	.type	_Z6kernelI14inclusive_scanaLj256ELj64ELj100EEvPKT0_PS1_S1_,@function
_Z6kernelI14inclusive_scanaLj256ELj64ELj100EEvPKT0_PS1_S1_: ; @_Z6kernelI14inclusive_scanaLj256ELj64ELj100EEvPKT0_PS1_S1_
; %bb.0:
	s_load_dword s0, s[4:5], 0x24
	s_load_dwordx4 s[8:11], s[4:5], 0x0
	v_mbcnt_lo_u32_b32 v2, -1, 0
	v_mbcnt_hi_u32_b32 v2, -1, v2
	v_and_b32_e32 v3, 15, v2
	s_waitcnt lgkmcnt(0)
	s_and_b32 s0, s0, 0xffff
	s_mul_i32 s6, s6, s0
	v_add_u32_e32 v0, s6, v0
	global_load_ubyte v1, v0, s[8:9]
	v_cmp_eq_u32_e32 vcc, 0, v3
	v_cmp_lt_u32_e64 s[0:1], 1, v3
	v_cmp_lt_u32_e64 s[2:3], 3, v3
	;; [unrolled: 1-line block ×3, first 2 shown]
	v_and_b32_e32 v3, 16, v2
	v_cmp_eq_u32_e64 s[6:7], 0, v3
	v_cmp_lt_u32_e64 s[8:9], 31, v2
	s_movk_i32 s12, 0x64
.LBB31_1:                               ; =>This Inner Loop Header: Depth=1
	s_waitcnt vmcnt(0)
	v_and_b32_e32 v2, 0xff, v1
	s_add_i32 s12, s12, -1
	s_cmp_lg_u32 s12, 0
	v_mov_b32_dpp v2, v2 row_shr:1 row_mask:0xf bank_mask:0xf
	v_cndmask_b32_e64 v2, v2, 0, vcc
	v_add_u16_e32 v1, v2, v1
	v_and_b32_e32 v2, 0xff, v1
	s_nop 1
	v_mov_b32_dpp v2, v2 row_shr:2 row_mask:0xf bank_mask:0xf
	v_cndmask_b32_e64 v2, 0, v2, s[0:1]
	v_add_u16_e32 v1, v1, v2
	v_and_b32_e32 v2, 0xff, v1
	s_nop 1
	v_mov_b32_dpp v2, v2 row_shr:4 row_mask:0xf bank_mask:0xf
	v_cndmask_b32_e64 v2, 0, v2, s[2:3]
	;; [unrolled: 5-line block ×3, first 2 shown]
	v_add_u16_e32 v1, v1, v2
	v_and_b32_e32 v2, 0xff, v1
	s_nop 1
	v_mov_b32_dpp v2, v2 row_bcast:15 row_mask:0xf bank_mask:0xf
	v_cndmask_b32_e64 v2, v2, 0, s[6:7]
	v_add_u16_e32 v1, v1, v2
	v_and_b32_e32 v2, 0xff, v1
	s_nop 1
	v_mov_b32_dpp v2, v2 row_bcast:31 row_mask:0xf bank_mask:0xf
	v_cndmask_b32_e64 v2, 0, v2, s[8:9]
	v_add_u16_e32 v1, v1, v2
	s_cbranch_scc1 .LBB31_1
; %bb.2:
	v_mov_b32_e32 v3, s11
	v_add_co_u32_e32 v2, vcc, s10, v0
	v_addc_co_u32_e32 v3, vcc, 0, v3, vcc
	global_store_byte v[2:3], v1, off
	s_endpgm
	.section	.rodata,"a",@progbits
	.p2align	6, 0x0
	.amdhsa_kernel _Z6kernelI14inclusive_scanaLj256ELj64ELj100EEvPKT0_PS1_S1_
		.amdhsa_group_segment_fixed_size 0
		.amdhsa_private_segment_fixed_size 0
		.amdhsa_kernarg_size 280
		.amdhsa_user_sgpr_count 6
		.amdhsa_user_sgpr_private_segment_buffer 1
		.amdhsa_user_sgpr_dispatch_ptr 0
		.amdhsa_user_sgpr_queue_ptr 0
		.amdhsa_user_sgpr_kernarg_segment_ptr 1
		.amdhsa_user_sgpr_dispatch_id 0
		.amdhsa_user_sgpr_flat_scratch_init 0
		.amdhsa_user_sgpr_private_segment_size 0
		.amdhsa_uses_dynamic_stack 0
		.amdhsa_system_sgpr_private_segment_wavefront_offset 0
		.amdhsa_system_sgpr_workgroup_id_x 1
		.amdhsa_system_sgpr_workgroup_id_y 0
		.amdhsa_system_sgpr_workgroup_id_z 0
		.amdhsa_system_sgpr_workgroup_info 0
		.amdhsa_system_vgpr_workitem_id 0
		.amdhsa_next_free_vgpr 4
		.amdhsa_next_free_sgpr 13
		.amdhsa_reserve_vcc 1
		.amdhsa_reserve_flat_scratch 0
		.amdhsa_float_round_mode_32 0
		.amdhsa_float_round_mode_16_64 0
		.amdhsa_float_denorm_mode_32 3
		.amdhsa_float_denorm_mode_16_64 3
		.amdhsa_dx10_clamp 1
		.amdhsa_ieee_mode 1
		.amdhsa_fp16_overflow 0
		.amdhsa_exception_fp_ieee_invalid_op 0
		.amdhsa_exception_fp_denorm_src 0
		.amdhsa_exception_fp_ieee_div_zero 0
		.amdhsa_exception_fp_ieee_overflow 0
		.amdhsa_exception_fp_ieee_underflow 0
		.amdhsa_exception_fp_ieee_inexact 0
		.amdhsa_exception_int_div_zero 0
	.end_amdhsa_kernel
	.section	.text._Z6kernelI14inclusive_scanaLj256ELj64ELj100EEvPKT0_PS1_S1_,"axG",@progbits,_Z6kernelI14inclusive_scanaLj256ELj64ELj100EEvPKT0_PS1_S1_,comdat
.Lfunc_end31:
	.size	_Z6kernelI14inclusive_scanaLj256ELj64ELj100EEvPKT0_PS1_S1_, .Lfunc_end31-_Z6kernelI14inclusive_scanaLj256ELj64ELj100EEvPKT0_PS1_S1_
                                        ; -- End function
	.set _Z6kernelI14inclusive_scanaLj256ELj64ELj100EEvPKT0_PS1_S1_.num_vgpr, 4
	.set _Z6kernelI14inclusive_scanaLj256ELj64ELj100EEvPKT0_PS1_S1_.num_agpr, 0
	.set _Z6kernelI14inclusive_scanaLj256ELj64ELj100EEvPKT0_PS1_S1_.numbered_sgpr, 13
	.set _Z6kernelI14inclusive_scanaLj256ELj64ELj100EEvPKT0_PS1_S1_.num_named_barrier, 0
	.set _Z6kernelI14inclusive_scanaLj256ELj64ELj100EEvPKT0_PS1_S1_.private_seg_size, 0
	.set _Z6kernelI14inclusive_scanaLj256ELj64ELj100EEvPKT0_PS1_S1_.uses_vcc, 1
	.set _Z6kernelI14inclusive_scanaLj256ELj64ELj100EEvPKT0_PS1_S1_.uses_flat_scratch, 0
	.set _Z6kernelI14inclusive_scanaLj256ELj64ELj100EEvPKT0_PS1_S1_.has_dyn_sized_stack, 0
	.set _Z6kernelI14inclusive_scanaLj256ELj64ELj100EEvPKT0_PS1_S1_.has_recursion, 0
	.set _Z6kernelI14inclusive_scanaLj256ELj64ELj100EEvPKT0_PS1_S1_.has_indirect_call, 0
	.section	.AMDGPU.csdata,"",@progbits
; Kernel info:
; codeLenInByte = 344
; TotalNumSgprs: 17
; NumVgprs: 4
; ScratchSize: 0
; MemoryBound: 0
; FloatMode: 240
; IeeeMode: 1
; LDSByteSize: 0 bytes/workgroup (compile time only)
; SGPRBlocks: 2
; VGPRBlocks: 0
; NumSGPRsForWavesPerEU: 17
; NumVGPRsForWavesPerEU: 4
; Occupancy: 10
; WaveLimiterHint : 0
; COMPUTE_PGM_RSRC2:SCRATCH_EN: 0
; COMPUTE_PGM_RSRC2:USER_SGPR: 6
; COMPUTE_PGM_RSRC2:TRAP_HANDLER: 0
; COMPUTE_PGM_RSRC2:TGID_X_EN: 1
; COMPUTE_PGM_RSRC2:TGID_Y_EN: 0
; COMPUTE_PGM_RSRC2:TGID_Z_EN: 0
; COMPUTE_PGM_RSRC2:TIDIG_COMP_CNT: 0
	.section	.text._Z6kernelI14inclusive_scanN15benchmark_utils11custom_typeIddEELj60ELj15ELj100EEvPKT0_PS4_S4_,"axG",@progbits,_Z6kernelI14inclusive_scanN15benchmark_utils11custom_typeIddEELj60ELj15ELj100EEvPKT0_PS4_S4_,comdat
	.protected	_Z6kernelI14inclusive_scanN15benchmark_utils11custom_typeIddEELj60ELj15ELj100EEvPKT0_PS4_S4_ ; -- Begin function _Z6kernelI14inclusive_scanN15benchmark_utils11custom_typeIddEELj60ELj15ELj100EEvPKT0_PS4_S4_
	.globl	_Z6kernelI14inclusive_scanN15benchmark_utils11custom_typeIddEELj60ELj15ELj100EEvPKT0_PS4_S4_
	.p2align	8
	.type	_Z6kernelI14inclusive_scanN15benchmark_utils11custom_typeIddEELj60ELj15ELj100EEvPKT0_PS4_S4_,@function
_Z6kernelI14inclusive_scanN15benchmark_utils11custom_typeIddEELj60ELj15ELj100EEvPKT0_PS4_S4_: ; @_Z6kernelI14inclusive_scanN15benchmark_utils11custom_typeIddEELj60ELj15ELj100EEvPKT0_PS4_S4_
; %bb.0:
	s_load_dword s0, s[4:5], 0x2c
	s_load_dwordx4 s[8:11], s[4:5], 0x0
	v_mov_b32_e32 v1, 0
	v_mbcnt_lo_u32_b32 v6, -1, 0
	v_mbcnt_hi_u32_b32 v6, -1, v6
	s_waitcnt lgkmcnt(0)
	s_and_b32 s0, s0, 0xffff
	s_mul_i32 s6, s6, s0
	v_add_u32_e32 v0, s6, v0
	v_lshlrev_b64 v[4:5], 4, v[0:1]
	v_mov_b32_e32 v1, s9
	v_add_co_u32_e32 v0, vcc, s8, v4
	v_addc_co_u32_e32 v1, vcc, v1, v5, vcc
	global_load_dwordx4 v[0:3], v[0:1], off
	s_mov_b32 s0, 0x11111112
	v_mul_hi_u32 v7, v6, s0
	s_movk_i32 s8, 0x64
	v_mul_u32_u24_e32 v7, 15, v7
	v_sub_u32_e32 v7, v6, v7
	v_lshlrev_b32_e32 v6, 4, v7
	v_cmp_ne_u32_e32 vcc, 0, v7
	v_cmp_lt_u32_e64 s[0:1], 1, v7
	v_cmp_lt_u32_e64 s[2:3], 3, v7
	v_cmp_lt_u32_e64 s[4:5], 7, v7
	v_add_u32_e32 v7, -16, v6
	v_subrev_u32_e32 v8, 32, v6
	v_subrev_u32_e32 v9, 64, v6
	v_add_u32_e32 v10, 0xffffff80, v6
	s_branch .LBB32_2
.LBB32_1:                               ;   in Loop: Header=BB32_2 Depth=1
	s_or_b64 exec, exec, s[6:7]
	s_add_i32 s8, s8, -1
	s_cmp_lg_u32 s8, 0
	; wave barrier
	s_cbranch_scc0 .LBB32_18
.LBB32_2:                               ; =>This Inner Loop Header: Depth=1
	s_waitcnt vmcnt(0)
	ds_write2_b64 v6, v[0:1], v[2:3] offset1:1
	; wave barrier
	s_and_saveexec_b64 s[6:7], vcc
	s_cbranch_execz .LBB32_4
; %bb.3:                                ;   in Loop: Header=BB32_2 Depth=1
	ds_read2_b64 v[11:14], v7 offset1:1
	s_waitcnt lgkmcnt(0)
	v_add_f64 v[0:1], v[0:1], v[11:12]
	v_add_f64 v[2:3], v[2:3], v[13:14]
.LBB32_4:                               ;   in Loop: Header=BB32_2 Depth=1
	s_or_b64 exec, exec, s[6:7]
	; wave barrier
	s_and_saveexec_b64 s[6:7], vcc
; %bb.5:                                ;   in Loop: Header=BB32_2 Depth=1
	ds_write2_b64 v6, v[0:1], v[2:3] offset1:1
; %bb.6:                                ;   in Loop: Header=BB32_2 Depth=1
	s_or_b64 exec, exec, s[6:7]
	; wave barrier
	s_and_saveexec_b64 s[6:7], s[0:1]
	s_cbranch_execz .LBB32_8
; %bb.7:                                ;   in Loop: Header=BB32_2 Depth=1
	ds_read2_b64 v[11:14], v8 offset1:1
	s_waitcnt lgkmcnt(0)
	v_add_f64 v[0:1], v[0:1], v[11:12]
	v_add_f64 v[2:3], v[2:3], v[13:14]
.LBB32_8:                               ;   in Loop: Header=BB32_2 Depth=1
	s_or_b64 exec, exec, s[6:7]
	; wave barrier
	s_and_saveexec_b64 s[6:7], s[0:1]
; %bb.9:                                ;   in Loop: Header=BB32_2 Depth=1
	ds_write2_b64 v6, v[0:1], v[2:3] offset1:1
; %bb.10:                               ;   in Loop: Header=BB32_2 Depth=1
	s_or_b64 exec, exec, s[6:7]
	; wave barrier
	s_and_saveexec_b64 s[6:7], s[2:3]
	s_cbranch_execz .LBB32_12
; %bb.11:                               ;   in Loop: Header=BB32_2 Depth=1
	ds_read2_b64 v[11:14], v9 offset1:1
	s_waitcnt lgkmcnt(0)
	v_add_f64 v[0:1], v[0:1], v[11:12]
	v_add_f64 v[2:3], v[2:3], v[13:14]
.LBB32_12:                              ;   in Loop: Header=BB32_2 Depth=1
	s_or_b64 exec, exec, s[6:7]
	; wave barrier
	s_and_saveexec_b64 s[6:7], s[2:3]
; %bb.13:                               ;   in Loop: Header=BB32_2 Depth=1
	ds_write2_b64 v6, v[0:1], v[2:3] offset1:1
; %bb.14:                               ;   in Loop: Header=BB32_2 Depth=1
	s_or_b64 exec, exec, s[6:7]
	; wave barrier
	s_and_saveexec_b64 s[6:7], s[4:5]
	s_cbranch_execz .LBB32_16
; %bb.15:                               ;   in Loop: Header=BB32_2 Depth=1
	ds_read2_b64 v[11:14], v10 offset1:1
	s_waitcnt lgkmcnt(0)
	v_add_f64 v[0:1], v[0:1], v[11:12]
	v_add_f64 v[2:3], v[2:3], v[13:14]
.LBB32_16:                              ;   in Loop: Header=BB32_2 Depth=1
	s_or_b64 exec, exec, s[6:7]
	; wave barrier
	s_and_saveexec_b64 s[6:7], s[4:5]
	s_cbranch_execz .LBB32_1
; %bb.17:                               ;   in Loop: Header=BB32_2 Depth=1
	ds_write2_b64 v6, v[0:1], v[2:3] offset1:1
	s_branch .LBB32_1
.LBB32_18:
	v_mov_b32_e32 v6, s11
	v_add_co_u32_e32 v4, vcc, s10, v4
	v_addc_co_u32_e32 v5, vcc, v6, v5, vcc
	global_store_dwordx4 v[4:5], v[0:3], off
	s_endpgm
	.section	.rodata,"a",@progbits
	.p2align	6, 0x0
	.amdhsa_kernel _Z6kernelI14inclusive_scanN15benchmark_utils11custom_typeIddEELj60ELj15ELj100EEvPKT0_PS4_S4_
		.amdhsa_group_segment_fixed_size 240
		.amdhsa_private_segment_fixed_size 0
		.amdhsa_kernarg_size 288
		.amdhsa_user_sgpr_count 6
		.amdhsa_user_sgpr_private_segment_buffer 1
		.amdhsa_user_sgpr_dispatch_ptr 0
		.amdhsa_user_sgpr_queue_ptr 0
		.amdhsa_user_sgpr_kernarg_segment_ptr 1
		.amdhsa_user_sgpr_dispatch_id 0
		.amdhsa_user_sgpr_flat_scratch_init 0
		.amdhsa_user_sgpr_private_segment_size 0
		.amdhsa_uses_dynamic_stack 0
		.amdhsa_system_sgpr_private_segment_wavefront_offset 0
		.amdhsa_system_sgpr_workgroup_id_x 1
		.amdhsa_system_sgpr_workgroup_id_y 0
		.amdhsa_system_sgpr_workgroup_id_z 0
		.amdhsa_system_sgpr_workgroup_info 0
		.amdhsa_system_vgpr_workitem_id 0
		.amdhsa_next_free_vgpr 15
		.amdhsa_next_free_sgpr 12
		.amdhsa_reserve_vcc 1
		.amdhsa_reserve_flat_scratch 0
		.amdhsa_float_round_mode_32 0
		.amdhsa_float_round_mode_16_64 0
		.amdhsa_float_denorm_mode_32 3
		.amdhsa_float_denorm_mode_16_64 3
		.amdhsa_dx10_clamp 1
		.amdhsa_ieee_mode 1
		.amdhsa_fp16_overflow 0
		.amdhsa_exception_fp_ieee_invalid_op 0
		.amdhsa_exception_fp_denorm_src 0
		.amdhsa_exception_fp_ieee_div_zero 0
		.amdhsa_exception_fp_ieee_overflow 0
		.amdhsa_exception_fp_ieee_underflow 0
		.amdhsa_exception_fp_ieee_inexact 0
		.amdhsa_exception_int_div_zero 0
	.end_amdhsa_kernel
	.section	.text._Z6kernelI14inclusive_scanN15benchmark_utils11custom_typeIddEELj60ELj15ELj100EEvPKT0_PS4_S4_,"axG",@progbits,_Z6kernelI14inclusive_scanN15benchmark_utils11custom_typeIddEELj60ELj15ELj100EEvPKT0_PS4_S4_,comdat
.Lfunc_end32:
	.size	_Z6kernelI14inclusive_scanN15benchmark_utils11custom_typeIddEELj60ELj15ELj100EEvPKT0_PS4_S4_, .Lfunc_end32-_Z6kernelI14inclusive_scanN15benchmark_utils11custom_typeIddEELj60ELj15ELj100EEvPKT0_PS4_S4_
                                        ; -- End function
	.set _Z6kernelI14inclusive_scanN15benchmark_utils11custom_typeIddEELj60ELj15ELj100EEvPKT0_PS4_S4_.num_vgpr, 15
	.set _Z6kernelI14inclusive_scanN15benchmark_utils11custom_typeIddEELj60ELj15ELj100EEvPKT0_PS4_S4_.num_agpr, 0
	.set _Z6kernelI14inclusive_scanN15benchmark_utils11custom_typeIddEELj60ELj15ELj100EEvPKT0_PS4_S4_.numbered_sgpr, 12
	.set _Z6kernelI14inclusive_scanN15benchmark_utils11custom_typeIddEELj60ELj15ELj100EEvPKT0_PS4_S4_.num_named_barrier, 0
	.set _Z6kernelI14inclusive_scanN15benchmark_utils11custom_typeIddEELj60ELj15ELj100EEvPKT0_PS4_S4_.private_seg_size, 0
	.set _Z6kernelI14inclusive_scanN15benchmark_utils11custom_typeIddEELj60ELj15ELj100EEvPKT0_PS4_S4_.uses_vcc, 1
	.set _Z6kernelI14inclusive_scanN15benchmark_utils11custom_typeIddEELj60ELj15ELj100EEvPKT0_PS4_S4_.uses_flat_scratch, 0
	.set _Z6kernelI14inclusive_scanN15benchmark_utils11custom_typeIddEELj60ELj15ELj100EEvPKT0_PS4_S4_.has_dyn_sized_stack, 0
	.set _Z6kernelI14inclusive_scanN15benchmark_utils11custom_typeIddEELj60ELj15ELj100EEvPKT0_PS4_S4_.has_recursion, 0
	.set _Z6kernelI14inclusive_scanN15benchmark_utils11custom_typeIddEELj60ELj15ELj100EEvPKT0_PS4_S4_.has_indirect_call, 0
	.section	.AMDGPU.csdata,"",@progbits
; Kernel info:
; codeLenInByte = 448
; TotalNumSgprs: 16
; NumVgprs: 15
; ScratchSize: 0
; MemoryBound: 0
; FloatMode: 240
; IeeeMode: 1
; LDSByteSize: 240 bytes/workgroup (compile time only)
; SGPRBlocks: 1
; VGPRBlocks: 3
; NumSGPRsForWavesPerEU: 16
; NumVGPRsForWavesPerEU: 15
; Occupancy: 10
; WaveLimiterHint : 0
; COMPUTE_PGM_RSRC2:SCRATCH_EN: 0
; COMPUTE_PGM_RSRC2:USER_SGPR: 6
; COMPUTE_PGM_RSRC2:TRAP_HANDLER: 0
; COMPUTE_PGM_RSRC2:TGID_X_EN: 1
; COMPUTE_PGM_RSRC2:TGID_Y_EN: 0
; COMPUTE_PGM_RSRC2:TGID_Z_EN: 0
; COMPUTE_PGM_RSRC2:TIDIG_COMP_CNT: 0
	.section	.text._Z6kernelI14inclusive_scanN15benchmark_utils11custom_typeIddEELj256ELj16ELj100EEvPKT0_PS4_S4_,"axG",@progbits,_Z6kernelI14inclusive_scanN15benchmark_utils11custom_typeIddEELj256ELj16ELj100EEvPKT0_PS4_S4_,comdat
	.protected	_Z6kernelI14inclusive_scanN15benchmark_utils11custom_typeIddEELj256ELj16ELj100EEvPKT0_PS4_S4_ ; -- Begin function _Z6kernelI14inclusive_scanN15benchmark_utils11custom_typeIddEELj256ELj16ELj100EEvPKT0_PS4_S4_
	.globl	_Z6kernelI14inclusive_scanN15benchmark_utils11custom_typeIddEELj256ELj16ELj100EEvPKT0_PS4_S4_
	.p2align	8
	.type	_Z6kernelI14inclusive_scanN15benchmark_utils11custom_typeIddEELj256ELj16ELj100EEvPKT0_PS4_S4_,@function
_Z6kernelI14inclusive_scanN15benchmark_utils11custom_typeIddEELj256ELj16ELj100EEvPKT0_PS4_S4_: ; @_Z6kernelI14inclusive_scanN15benchmark_utils11custom_typeIddEELj256ELj16ELj100EEvPKT0_PS4_S4_
; %bb.0:
	s_load_dword s0, s[4:5], 0x2c
	s_load_dwordx4 s[8:11], s[4:5], 0x0
	v_mov_b32_e32 v1, 0
	v_mbcnt_lo_u32_b32 v6, -1, 0
	v_mbcnt_hi_u32_b32 v6, -1, v6
	s_waitcnt lgkmcnt(0)
	s_and_b32 s0, s0, 0xffff
	s_mul_i32 s6, s6, s0
	v_add_u32_e32 v0, s6, v0
	v_lshlrev_b64 v[4:5], 4, v[0:1]
	v_mov_b32_e32 v1, s9
	v_add_co_u32_e32 v0, vcc, s8, v4
	v_addc_co_u32_e32 v1, vcc, v1, v5, vcc
	global_load_dwordx4 v[0:3], v[0:1], off
	v_and_b32_e32 v6, 15, v6
	v_cmp_ne_u32_e32 vcc, 0, v6
	v_cmp_lt_u32_e64 s[0:1], 1, v6
	v_cmp_lt_u32_e64 s[2:3], 3, v6
	;; [unrolled: 1-line block ×3, first 2 shown]
	s_movk_i32 s8, 0x64
	s_branch .LBB33_2
.LBB33_1:                               ;   in Loop: Header=BB33_2 Depth=1
	s_or_b64 exec, exec, s[6:7]
	s_add_i32 s8, s8, -1
	s_cmp_lg_u32 s8, 0
	s_cbranch_scc0 .LBB33_10
.LBB33_2:                               ; =>This Inner Loop Header: Depth=1
	s_waitcnt vmcnt(0)
	v_mov_b32_dpp v6, v0 row_shr:1 row_mask:0xf bank_mask:0xf
	v_mov_b32_dpp v7, v1 row_shr:1 row_mask:0xf bank_mask:0xf
	;; [unrolled: 1-line block ×4, first 2 shown]
	s_and_saveexec_b64 s[6:7], vcc
	s_cbranch_execz .LBB33_4
; %bb.3:                                ;   in Loop: Header=BB33_2 Depth=1
	v_add_f64 v[2:3], v[2:3], v[8:9]
	v_add_f64 v[0:1], v[0:1], v[6:7]
.LBB33_4:                               ;   in Loop: Header=BB33_2 Depth=1
	s_or_b64 exec, exec, s[6:7]
	s_nop 0
	v_mov_b32_dpp v6, v0 row_shr:2 row_mask:0xf bank_mask:0xf
	v_mov_b32_dpp v7, v1 row_shr:2 row_mask:0xf bank_mask:0xf
	v_mov_b32_dpp v8, v2 row_shr:2 row_mask:0xf bank_mask:0xf
	v_mov_b32_dpp v9, v3 row_shr:2 row_mask:0xf bank_mask:0xf
	s_and_saveexec_b64 s[6:7], s[0:1]
	s_cbranch_execz .LBB33_6
; %bb.5:                                ;   in Loop: Header=BB33_2 Depth=1
	v_add_f64 v[2:3], v[2:3], v[8:9]
	v_add_f64 v[0:1], v[0:1], v[6:7]
.LBB33_6:                               ;   in Loop: Header=BB33_2 Depth=1
	s_or_b64 exec, exec, s[6:7]
	s_nop 0
	v_mov_b32_dpp v6, v0 row_shr:4 row_mask:0xf bank_mask:0xf
	v_mov_b32_dpp v7, v1 row_shr:4 row_mask:0xf bank_mask:0xf
	v_mov_b32_dpp v8, v2 row_shr:4 row_mask:0xf bank_mask:0xf
	v_mov_b32_dpp v9, v3 row_shr:4 row_mask:0xf bank_mask:0xf
	s_and_saveexec_b64 s[6:7], s[2:3]
	;; [unrolled: 12-line block ×3, first 2 shown]
	s_cbranch_execz .LBB33_1
; %bb.9:                                ;   in Loop: Header=BB33_2 Depth=1
	v_add_f64 v[2:3], v[2:3], v[8:9]
	v_add_f64 v[0:1], v[0:1], v[6:7]
	s_branch .LBB33_1
.LBB33_10:
	v_mov_b32_e32 v6, s11
	v_add_co_u32_e32 v4, vcc, s10, v4
	v_addc_co_u32_e32 v5, vcc, v6, v5, vcc
	global_store_dwordx4 v[4:5], v[0:3], off
	s_endpgm
	.section	.rodata,"a",@progbits
	.p2align	6, 0x0
	.amdhsa_kernel _Z6kernelI14inclusive_scanN15benchmark_utils11custom_typeIddEELj256ELj16ELj100EEvPKT0_PS4_S4_
		.amdhsa_group_segment_fixed_size 0
		.amdhsa_private_segment_fixed_size 0
		.amdhsa_kernarg_size 288
		.amdhsa_user_sgpr_count 6
		.amdhsa_user_sgpr_private_segment_buffer 1
		.amdhsa_user_sgpr_dispatch_ptr 0
		.amdhsa_user_sgpr_queue_ptr 0
		.amdhsa_user_sgpr_kernarg_segment_ptr 1
		.amdhsa_user_sgpr_dispatch_id 0
		.amdhsa_user_sgpr_flat_scratch_init 0
		.amdhsa_user_sgpr_private_segment_size 0
		.amdhsa_uses_dynamic_stack 0
		.amdhsa_system_sgpr_private_segment_wavefront_offset 0
		.amdhsa_system_sgpr_workgroup_id_x 1
		.amdhsa_system_sgpr_workgroup_id_y 0
		.amdhsa_system_sgpr_workgroup_id_z 0
		.amdhsa_system_sgpr_workgroup_info 0
		.amdhsa_system_vgpr_workitem_id 0
		.amdhsa_next_free_vgpr 10
		.amdhsa_next_free_sgpr 12
		.amdhsa_reserve_vcc 1
		.amdhsa_reserve_flat_scratch 0
		.amdhsa_float_round_mode_32 0
		.amdhsa_float_round_mode_16_64 0
		.amdhsa_float_denorm_mode_32 3
		.amdhsa_float_denorm_mode_16_64 3
		.amdhsa_dx10_clamp 1
		.amdhsa_ieee_mode 1
		.amdhsa_fp16_overflow 0
		.amdhsa_exception_fp_ieee_invalid_op 0
		.amdhsa_exception_fp_denorm_src 0
		.amdhsa_exception_fp_ieee_div_zero 0
		.amdhsa_exception_fp_ieee_overflow 0
		.amdhsa_exception_fp_ieee_underflow 0
		.amdhsa_exception_fp_ieee_inexact 0
		.amdhsa_exception_int_div_zero 0
	.end_amdhsa_kernel
	.section	.text._Z6kernelI14inclusive_scanN15benchmark_utils11custom_typeIddEELj256ELj16ELj100EEvPKT0_PS4_S4_,"axG",@progbits,_Z6kernelI14inclusive_scanN15benchmark_utils11custom_typeIddEELj256ELj16ELj100EEvPKT0_PS4_S4_,comdat
.Lfunc_end33:
	.size	_Z6kernelI14inclusive_scanN15benchmark_utils11custom_typeIddEELj256ELj16ELj100EEvPKT0_PS4_S4_, .Lfunc_end33-_Z6kernelI14inclusive_scanN15benchmark_utils11custom_typeIddEELj256ELj16ELj100EEvPKT0_PS4_S4_
                                        ; -- End function
	.set _Z6kernelI14inclusive_scanN15benchmark_utils11custom_typeIddEELj256ELj16ELj100EEvPKT0_PS4_S4_.num_vgpr, 10
	.set _Z6kernelI14inclusive_scanN15benchmark_utils11custom_typeIddEELj256ELj16ELj100EEvPKT0_PS4_S4_.num_agpr, 0
	.set _Z6kernelI14inclusive_scanN15benchmark_utils11custom_typeIddEELj256ELj16ELj100EEvPKT0_PS4_S4_.numbered_sgpr, 12
	.set _Z6kernelI14inclusive_scanN15benchmark_utils11custom_typeIddEELj256ELj16ELj100EEvPKT0_PS4_S4_.num_named_barrier, 0
	.set _Z6kernelI14inclusive_scanN15benchmark_utils11custom_typeIddEELj256ELj16ELj100EEvPKT0_PS4_S4_.private_seg_size, 0
	.set _Z6kernelI14inclusive_scanN15benchmark_utils11custom_typeIddEELj256ELj16ELj100EEvPKT0_PS4_S4_.uses_vcc, 1
	.set _Z6kernelI14inclusive_scanN15benchmark_utils11custom_typeIddEELj256ELj16ELj100EEvPKT0_PS4_S4_.uses_flat_scratch, 0
	.set _Z6kernelI14inclusive_scanN15benchmark_utils11custom_typeIddEELj256ELj16ELj100EEvPKT0_PS4_S4_.has_dyn_sized_stack, 0
	.set _Z6kernelI14inclusive_scanN15benchmark_utils11custom_typeIddEELj256ELj16ELj100EEvPKT0_PS4_S4_.has_recursion, 0
	.set _Z6kernelI14inclusive_scanN15benchmark_utils11custom_typeIddEELj256ELj16ELj100EEvPKT0_PS4_S4_.has_indirect_call, 0
	.section	.AMDGPU.csdata,"",@progbits
; Kernel info:
; codeLenInByte = 420
; TotalNumSgprs: 16
; NumVgprs: 10
; ScratchSize: 0
; MemoryBound: 0
; FloatMode: 240
; IeeeMode: 1
; LDSByteSize: 0 bytes/workgroup (compile time only)
; SGPRBlocks: 1
; VGPRBlocks: 2
; NumSGPRsForWavesPerEU: 16
; NumVGPRsForWavesPerEU: 10
; Occupancy: 10
; WaveLimiterHint : 0
; COMPUTE_PGM_RSRC2:SCRATCH_EN: 0
; COMPUTE_PGM_RSRC2:USER_SGPR: 6
; COMPUTE_PGM_RSRC2:TRAP_HANDLER: 0
; COMPUTE_PGM_RSRC2:TGID_X_EN: 1
; COMPUTE_PGM_RSRC2:TGID_Y_EN: 0
; COMPUTE_PGM_RSRC2:TGID_Z_EN: 0
; COMPUTE_PGM_RSRC2:TIDIG_COMP_CNT: 0
	.section	.text._Z6kernelI14inclusive_scanN15benchmark_utils11custom_typeIddEELj62ELj31ELj100EEvPKT0_PS4_S4_,"axG",@progbits,_Z6kernelI14inclusive_scanN15benchmark_utils11custom_typeIddEELj62ELj31ELj100EEvPKT0_PS4_S4_,comdat
	.protected	_Z6kernelI14inclusive_scanN15benchmark_utils11custom_typeIddEELj62ELj31ELj100EEvPKT0_PS4_S4_ ; -- Begin function _Z6kernelI14inclusive_scanN15benchmark_utils11custom_typeIddEELj62ELj31ELj100EEvPKT0_PS4_S4_
	.globl	_Z6kernelI14inclusive_scanN15benchmark_utils11custom_typeIddEELj62ELj31ELj100EEvPKT0_PS4_S4_
	.p2align	8
	.type	_Z6kernelI14inclusive_scanN15benchmark_utils11custom_typeIddEELj62ELj31ELj100EEvPKT0_PS4_S4_,@function
_Z6kernelI14inclusive_scanN15benchmark_utils11custom_typeIddEELj62ELj31ELj100EEvPKT0_PS4_S4_: ; @_Z6kernelI14inclusive_scanN15benchmark_utils11custom_typeIddEELj62ELj31ELj100EEvPKT0_PS4_S4_
; %bb.0:
	s_load_dword s0, s[4:5], 0x2c
	s_load_dwordx4 s[8:11], s[4:5], 0x0
	v_mov_b32_e32 v1, 0
	v_mbcnt_lo_u32_b32 v6, -1, 0
	v_mbcnt_hi_u32_b32 v6, -1, v6
	s_waitcnt lgkmcnt(0)
	s_and_b32 s0, s0, 0xffff
	s_mul_i32 s6, s6, s0
	v_add_u32_e32 v0, s6, v0
	v_lshlrev_b64 v[4:5], 4, v[0:1]
	v_mov_b32_e32 v1, s9
	v_add_co_u32_e32 v0, vcc, s8, v4
	v_addc_co_u32_e32 v1, vcc, v1, v5, vcc
	global_load_dwordx4 v[0:3], v[0:1], off
	s_mov_b32 s0, 0x8421085
	v_mul_hi_u32 v7, v6, s0
	s_movk_i32 s12, 0x64
	v_mul_u32_u24_e32 v7, 31, v7
	v_sub_u32_e32 v7, v6, v7
	v_lshlrev_b32_e32 v6, 4, v7
	v_cmp_ne_u32_e32 vcc, 0, v7
	v_cmp_lt_u32_e64 s[0:1], 1, v7
	v_cmp_lt_u32_e64 s[2:3], 3, v7
	;; [unrolled: 1-line block ×4, first 2 shown]
	v_add_u32_e32 v7, -16, v6
	v_subrev_u32_e32 v8, 32, v6
	v_subrev_u32_e32 v9, 64, v6
	v_add_u32_e32 v10, 0xffffff80, v6
	v_add_u32_e32 v11, 0xffffff00, v6
	s_branch .LBB34_2
.LBB34_1:                               ;   in Loop: Header=BB34_2 Depth=1
	s_or_b64 exec, exec, s[8:9]
	s_add_i32 s12, s12, -1
	s_cmp_lg_u32 s12, 0
	; wave barrier
	s_cbranch_scc0 .LBB34_22
.LBB34_2:                               ; =>This Inner Loop Header: Depth=1
	s_waitcnt vmcnt(0)
	ds_write2_b64 v6, v[0:1], v[2:3] offset1:1
	; wave barrier
	s_and_saveexec_b64 s[8:9], vcc
	s_cbranch_execz .LBB34_4
; %bb.3:                                ;   in Loop: Header=BB34_2 Depth=1
	ds_read2_b64 v[12:15], v7 offset1:1
	s_waitcnt lgkmcnt(0)
	v_add_f64 v[0:1], v[0:1], v[12:13]
	v_add_f64 v[2:3], v[2:3], v[14:15]
.LBB34_4:                               ;   in Loop: Header=BB34_2 Depth=1
	s_or_b64 exec, exec, s[8:9]
	; wave barrier
	s_and_saveexec_b64 s[8:9], vcc
; %bb.5:                                ;   in Loop: Header=BB34_2 Depth=1
	ds_write2_b64 v6, v[0:1], v[2:3] offset1:1
; %bb.6:                                ;   in Loop: Header=BB34_2 Depth=1
	s_or_b64 exec, exec, s[8:9]
	; wave barrier
	s_and_saveexec_b64 s[8:9], s[0:1]
	s_cbranch_execz .LBB34_8
; %bb.7:                                ;   in Loop: Header=BB34_2 Depth=1
	ds_read2_b64 v[12:15], v8 offset1:1
	s_waitcnt lgkmcnt(0)
	v_add_f64 v[0:1], v[0:1], v[12:13]
	v_add_f64 v[2:3], v[2:3], v[14:15]
.LBB34_8:                               ;   in Loop: Header=BB34_2 Depth=1
	s_or_b64 exec, exec, s[8:9]
	; wave barrier
	s_and_saveexec_b64 s[8:9], s[0:1]
; %bb.9:                                ;   in Loop: Header=BB34_2 Depth=1
	ds_write2_b64 v6, v[0:1], v[2:3] offset1:1
; %bb.10:                               ;   in Loop: Header=BB34_2 Depth=1
	s_or_b64 exec, exec, s[8:9]
	; wave barrier
	s_and_saveexec_b64 s[8:9], s[2:3]
	s_cbranch_execz .LBB34_12
; %bb.11:                               ;   in Loop: Header=BB34_2 Depth=1
	ds_read2_b64 v[12:15], v9 offset1:1
	s_waitcnt lgkmcnt(0)
	v_add_f64 v[0:1], v[0:1], v[12:13]
	v_add_f64 v[2:3], v[2:3], v[14:15]
.LBB34_12:                              ;   in Loop: Header=BB34_2 Depth=1
	s_or_b64 exec, exec, s[8:9]
	; wave barrier
	s_and_saveexec_b64 s[8:9], s[2:3]
; %bb.13:                               ;   in Loop: Header=BB34_2 Depth=1
	ds_write2_b64 v6, v[0:1], v[2:3] offset1:1
; %bb.14:                               ;   in Loop: Header=BB34_2 Depth=1
	s_or_b64 exec, exec, s[8:9]
	; wave barrier
	s_and_saveexec_b64 s[8:9], s[4:5]
	s_cbranch_execz .LBB34_16
; %bb.15:                               ;   in Loop: Header=BB34_2 Depth=1
	ds_read2_b64 v[12:15], v10 offset1:1
	s_waitcnt lgkmcnt(0)
	v_add_f64 v[0:1], v[0:1], v[12:13]
	v_add_f64 v[2:3], v[2:3], v[14:15]
.LBB34_16:                              ;   in Loop: Header=BB34_2 Depth=1
	s_or_b64 exec, exec, s[8:9]
	; wave barrier
	s_and_saveexec_b64 s[8:9], s[4:5]
; %bb.17:                               ;   in Loop: Header=BB34_2 Depth=1
	ds_write2_b64 v6, v[0:1], v[2:3] offset1:1
; %bb.18:                               ;   in Loop: Header=BB34_2 Depth=1
	s_or_b64 exec, exec, s[8:9]
	; wave barrier
	s_and_saveexec_b64 s[8:9], s[6:7]
	s_cbranch_execz .LBB34_20
; %bb.19:                               ;   in Loop: Header=BB34_2 Depth=1
	ds_read2_b64 v[12:15], v11 offset1:1
	s_waitcnt lgkmcnt(0)
	v_add_f64 v[0:1], v[0:1], v[12:13]
	v_add_f64 v[2:3], v[2:3], v[14:15]
.LBB34_20:                              ;   in Loop: Header=BB34_2 Depth=1
	s_or_b64 exec, exec, s[8:9]
	; wave barrier
	s_and_saveexec_b64 s[8:9], s[6:7]
	s_cbranch_execz .LBB34_1
; %bb.21:                               ;   in Loop: Header=BB34_2 Depth=1
	ds_write2_b64 v6, v[0:1], v[2:3] offset1:1
	s_branch .LBB34_1
.LBB34_22:
	v_mov_b32_e32 v6, s11
	v_add_co_u32_e32 v4, vcc, s10, v4
	v_addc_co_u32_e32 v5, vcc, v6, v5, vcc
	global_store_dwordx4 v[4:5], v[0:3], off
	s_endpgm
	.section	.rodata,"a",@progbits
	.p2align	6, 0x0
	.amdhsa_kernel _Z6kernelI14inclusive_scanN15benchmark_utils11custom_typeIddEELj62ELj31ELj100EEvPKT0_PS4_S4_
		.amdhsa_group_segment_fixed_size 496
		.amdhsa_private_segment_fixed_size 0
		.amdhsa_kernarg_size 288
		.amdhsa_user_sgpr_count 6
		.amdhsa_user_sgpr_private_segment_buffer 1
		.amdhsa_user_sgpr_dispatch_ptr 0
		.amdhsa_user_sgpr_queue_ptr 0
		.amdhsa_user_sgpr_kernarg_segment_ptr 1
		.amdhsa_user_sgpr_dispatch_id 0
		.amdhsa_user_sgpr_flat_scratch_init 0
		.amdhsa_user_sgpr_private_segment_size 0
		.amdhsa_uses_dynamic_stack 0
		.amdhsa_system_sgpr_private_segment_wavefront_offset 0
		.amdhsa_system_sgpr_workgroup_id_x 1
		.amdhsa_system_sgpr_workgroup_id_y 0
		.amdhsa_system_sgpr_workgroup_id_z 0
		.amdhsa_system_sgpr_workgroup_info 0
		.amdhsa_system_vgpr_workitem_id 0
		.amdhsa_next_free_vgpr 16
		.amdhsa_next_free_sgpr 13
		.amdhsa_reserve_vcc 1
		.amdhsa_reserve_flat_scratch 0
		.amdhsa_float_round_mode_32 0
		.amdhsa_float_round_mode_16_64 0
		.amdhsa_float_denorm_mode_32 3
		.amdhsa_float_denorm_mode_16_64 3
		.amdhsa_dx10_clamp 1
		.amdhsa_ieee_mode 1
		.amdhsa_fp16_overflow 0
		.amdhsa_exception_fp_ieee_invalid_op 0
		.amdhsa_exception_fp_denorm_src 0
		.amdhsa_exception_fp_ieee_div_zero 0
		.amdhsa_exception_fp_ieee_overflow 0
		.amdhsa_exception_fp_ieee_underflow 0
		.amdhsa_exception_fp_ieee_inexact 0
		.amdhsa_exception_int_div_zero 0
	.end_amdhsa_kernel
	.section	.text._Z6kernelI14inclusive_scanN15benchmark_utils11custom_typeIddEELj62ELj31ELj100EEvPKT0_PS4_S4_,"axG",@progbits,_Z6kernelI14inclusive_scanN15benchmark_utils11custom_typeIddEELj62ELj31ELj100EEvPKT0_PS4_S4_,comdat
.Lfunc_end34:
	.size	_Z6kernelI14inclusive_scanN15benchmark_utils11custom_typeIddEELj62ELj31ELj100EEvPKT0_PS4_S4_, .Lfunc_end34-_Z6kernelI14inclusive_scanN15benchmark_utils11custom_typeIddEELj62ELj31ELj100EEvPKT0_PS4_S4_
                                        ; -- End function
	.set _Z6kernelI14inclusive_scanN15benchmark_utils11custom_typeIddEELj62ELj31ELj100EEvPKT0_PS4_S4_.num_vgpr, 16
	.set _Z6kernelI14inclusive_scanN15benchmark_utils11custom_typeIddEELj62ELj31ELj100EEvPKT0_PS4_S4_.num_agpr, 0
	.set _Z6kernelI14inclusive_scanN15benchmark_utils11custom_typeIddEELj62ELj31ELj100EEvPKT0_PS4_S4_.numbered_sgpr, 13
	.set _Z6kernelI14inclusive_scanN15benchmark_utils11custom_typeIddEELj62ELj31ELj100EEvPKT0_PS4_S4_.num_named_barrier, 0
	.set _Z6kernelI14inclusive_scanN15benchmark_utils11custom_typeIddEELj62ELj31ELj100EEvPKT0_PS4_S4_.private_seg_size, 0
	.set _Z6kernelI14inclusive_scanN15benchmark_utils11custom_typeIddEELj62ELj31ELj100EEvPKT0_PS4_S4_.uses_vcc, 1
	.set _Z6kernelI14inclusive_scanN15benchmark_utils11custom_typeIddEELj62ELj31ELj100EEvPKT0_PS4_S4_.uses_flat_scratch, 0
	.set _Z6kernelI14inclusive_scanN15benchmark_utils11custom_typeIddEELj62ELj31ELj100EEvPKT0_PS4_S4_.has_dyn_sized_stack, 0
	.set _Z6kernelI14inclusive_scanN15benchmark_utils11custom_typeIddEELj62ELj31ELj100EEvPKT0_PS4_S4_.has_recursion, 0
	.set _Z6kernelI14inclusive_scanN15benchmark_utils11custom_typeIddEELj62ELj31ELj100EEvPKT0_PS4_S4_.has_indirect_call, 0
	.section	.AMDGPU.csdata,"",@progbits
; Kernel info:
; codeLenInByte = 520
; TotalNumSgprs: 17
; NumVgprs: 16
; ScratchSize: 0
; MemoryBound: 0
; FloatMode: 240
; IeeeMode: 1
; LDSByteSize: 496 bytes/workgroup (compile time only)
; SGPRBlocks: 2
; VGPRBlocks: 3
; NumSGPRsForWavesPerEU: 17
; NumVGPRsForWavesPerEU: 16
; Occupancy: 10
; WaveLimiterHint : 0
; COMPUTE_PGM_RSRC2:SCRATCH_EN: 0
; COMPUTE_PGM_RSRC2:USER_SGPR: 6
; COMPUTE_PGM_RSRC2:TRAP_HANDLER: 0
; COMPUTE_PGM_RSRC2:TGID_X_EN: 1
; COMPUTE_PGM_RSRC2:TGID_Y_EN: 0
; COMPUTE_PGM_RSRC2:TGID_Z_EN: 0
; COMPUTE_PGM_RSRC2:TIDIG_COMP_CNT: 0
	.section	.text._Z6kernelI14inclusive_scanN15benchmark_utils11custom_typeIddEELj256ELj32ELj100EEvPKT0_PS4_S4_,"axG",@progbits,_Z6kernelI14inclusive_scanN15benchmark_utils11custom_typeIddEELj256ELj32ELj100EEvPKT0_PS4_S4_,comdat
	.protected	_Z6kernelI14inclusive_scanN15benchmark_utils11custom_typeIddEELj256ELj32ELj100EEvPKT0_PS4_S4_ ; -- Begin function _Z6kernelI14inclusive_scanN15benchmark_utils11custom_typeIddEELj256ELj32ELj100EEvPKT0_PS4_S4_
	.globl	_Z6kernelI14inclusive_scanN15benchmark_utils11custom_typeIddEELj256ELj32ELj100EEvPKT0_PS4_S4_
	.p2align	8
	.type	_Z6kernelI14inclusive_scanN15benchmark_utils11custom_typeIddEELj256ELj32ELj100EEvPKT0_PS4_S4_,@function
_Z6kernelI14inclusive_scanN15benchmark_utils11custom_typeIddEELj256ELj32ELj100EEvPKT0_PS4_S4_: ; @_Z6kernelI14inclusive_scanN15benchmark_utils11custom_typeIddEELj256ELj32ELj100EEvPKT0_PS4_S4_
; %bb.0:
	s_load_dword s0, s[4:5], 0x2c
	s_load_dwordx4 s[8:11], s[4:5], 0x0
	v_mov_b32_e32 v1, 0
	v_mbcnt_lo_u32_b32 v6, -1, 0
	v_mbcnt_hi_u32_b32 v6, -1, v6
	s_waitcnt lgkmcnt(0)
	s_and_b32 s0, s0, 0xffff
	s_mul_i32 s6, s6, s0
	v_add_u32_e32 v0, s6, v0
	v_lshlrev_b64 v[4:5], 4, v[0:1]
	v_mov_b32_e32 v1, s9
	v_add_co_u32_e32 v0, vcc, s8, v4
	v_addc_co_u32_e32 v1, vcc, v1, v5, vcc
	global_load_dwordx4 v[0:3], v[0:1], off
	v_and_b32_e32 v7, 15, v6
	v_and_b32_e32 v6, 16, v6
	v_cmp_ne_u32_e32 vcc, 0, v7
	v_cmp_lt_u32_e64 s[0:1], 1, v7
	v_cmp_lt_u32_e64 s[2:3], 3, v7
	;; [unrolled: 1-line block ×3, first 2 shown]
	v_cmp_ne_u32_e64 s[6:7], 0, v6
	s_movk_i32 s12, 0x64
	s_branch .LBB35_2
.LBB35_1:                               ;   in Loop: Header=BB35_2 Depth=1
	s_or_b64 exec, exec, s[8:9]
	s_add_i32 s12, s12, -1
	s_cmp_lg_u32 s12, 0
	s_cbranch_scc0 .LBB35_12
.LBB35_2:                               ; =>This Inner Loop Header: Depth=1
	s_waitcnt vmcnt(0)
	v_mov_b32_dpp v6, v0 row_shr:1 row_mask:0xf bank_mask:0xf
	v_mov_b32_dpp v7, v1 row_shr:1 row_mask:0xf bank_mask:0xf
	;; [unrolled: 1-line block ×4, first 2 shown]
	s_and_saveexec_b64 s[8:9], vcc
	s_cbranch_execz .LBB35_4
; %bb.3:                                ;   in Loop: Header=BB35_2 Depth=1
	v_add_f64 v[2:3], v[2:3], v[8:9]
	v_add_f64 v[0:1], v[0:1], v[6:7]
.LBB35_4:                               ;   in Loop: Header=BB35_2 Depth=1
	s_or_b64 exec, exec, s[8:9]
	s_nop 0
	v_mov_b32_dpp v6, v0 row_shr:2 row_mask:0xf bank_mask:0xf
	v_mov_b32_dpp v7, v1 row_shr:2 row_mask:0xf bank_mask:0xf
	v_mov_b32_dpp v8, v2 row_shr:2 row_mask:0xf bank_mask:0xf
	v_mov_b32_dpp v9, v3 row_shr:2 row_mask:0xf bank_mask:0xf
	s_and_saveexec_b64 s[8:9], s[0:1]
	s_cbranch_execz .LBB35_6
; %bb.5:                                ;   in Loop: Header=BB35_2 Depth=1
	v_add_f64 v[2:3], v[2:3], v[8:9]
	v_add_f64 v[0:1], v[0:1], v[6:7]
.LBB35_6:                               ;   in Loop: Header=BB35_2 Depth=1
	s_or_b64 exec, exec, s[8:9]
	s_nop 0
	v_mov_b32_dpp v6, v0 row_shr:4 row_mask:0xf bank_mask:0xf
	v_mov_b32_dpp v7, v1 row_shr:4 row_mask:0xf bank_mask:0xf
	v_mov_b32_dpp v8, v2 row_shr:4 row_mask:0xf bank_mask:0xf
	v_mov_b32_dpp v9, v3 row_shr:4 row_mask:0xf bank_mask:0xf
	s_and_saveexec_b64 s[8:9], s[2:3]
	;; [unrolled: 12-line block ×3, first 2 shown]
	s_cbranch_execz .LBB35_10
; %bb.9:                                ;   in Loop: Header=BB35_2 Depth=1
	v_add_f64 v[2:3], v[2:3], v[8:9]
	v_add_f64 v[0:1], v[0:1], v[6:7]
.LBB35_10:                              ;   in Loop: Header=BB35_2 Depth=1
	s_or_b64 exec, exec, s[8:9]
	s_nop 0
	v_mov_b32_dpp v6, v0 row_bcast:15 row_mask:0xf bank_mask:0xf
	v_mov_b32_dpp v7, v1 row_bcast:15 row_mask:0xf bank_mask:0xf
	;; [unrolled: 1-line block ×4, first 2 shown]
	s_and_saveexec_b64 s[8:9], s[6:7]
	s_cbranch_execz .LBB35_1
; %bb.11:                               ;   in Loop: Header=BB35_2 Depth=1
	v_add_f64 v[2:3], v[2:3], v[8:9]
	v_add_f64 v[0:1], v[0:1], v[6:7]
	s_branch .LBB35_1
.LBB35_12:
	v_mov_b32_e32 v6, s11
	v_add_co_u32_e32 v4, vcc, s10, v4
	v_addc_co_u32_e32 v5, vcc, v6, v5, vcc
	global_store_dwordx4 v[4:5], v[0:3], off
	s_endpgm
	.section	.rodata,"a",@progbits
	.p2align	6, 0x0
	.amdhsa_kernel _Z6kernelI14inclusive_scanN15benchmark_utils11custom_typeIddEELj256ELj32ELj100EEvPKT0_PS4_S4_
		.amdhsa_group_segment_fixed_size 0
		.amdhsa_private_segment_fixed_size 0
		.amdhsa_kernarg_size 288
		.amdhsa_user_sgpr_count 6
		.amdhsa_user_sgpr_private_segment_buffer 1
		.amdhsa_user_sgpr_dispatch_ptr 0
		.amdhsa_user_sgpr_queue_ptr 0
		.amdhsa_user_sgpr_kernarg_segment_ptr 1
		.amdhsa_user_sgpr_dispatch_id 0
		.amdhsa_user_sgpr_flat_scratch_init 0
		.amdhsa_user_sgpr_private_segment_size 0
		.amdhsa_uses_dynamic_stack 0
		.amdhsa_system_sgpr_private_segment_wavefront_offset 0
		.amdhsa_system_sgpr_workgroup_id_x 1
		.amdhsa_system_sgpr_workgroup_id_y 0
		.amdhsa_system_sgpr_workgroup_id_z 0
		.amdhsa_system_sgpr_workgroup_info 0
		.amdhsa_system_vgpr_workitem_id 0
		.amdhsa_next_free_vgpr 10
		.amdhsa_next_free_sgpr 13
		.amdhsa_reserve_vcc 1
		.amdhsa_reserve_flat_scratch 0
		.amdhsa_float_round_mode_32 0
		.amdhsa_float_round_mode_16_64 0
		.amdhsa_float_denorm_mode_32 3
		.amdhsa_float_denorm_mode_16_64 3
		.amdhsa_dx10_clamp 1
		.amdhsa_ieee_mode 1
		.amdhsa_fp16_overflow 0
		.amdhsa_exception_fp_ieee_invalid_op 0
		.amdhsa_exception_fp_denorm_src 0
		.amdhsa_exception_fp_ieee_div_zero 0
		.amdhsa_exception_fp_ieee_overflow 0
		.amdhsa_exception_fp_ieee_underflow 0
		.amdhsa_exception_fp_ieee_inexact 0
		.amdhsa_exception_int_div_zero 0
	.end_amdhsa_kernel
	.section	.text._Z6kernelI14inclusive_scanN15benchmark_utils11custom_typeIddEELj256ELj32ELj100EEvPKT0_PS4_S4_,"axG",@progbits,_Z6kernelI14inclusive_scanN15benchmark_utils11custom_typeIddEELj256ELj32ELj100EEvPKT0_PS4_S4_,comdat
.Lfunc_end35:
	.size	_Z6kernelI14inclusive_scanN15benchmark_utils11custom_typeIddEELj256ELj32ELj100EEvPKT0_PS4_S4_, .Lfunc_end35-_Z6kernelI14inclusive_scanN15benchmark_utils11custom_typeIddEELj256ELj32ELj100EEvPKT0_PS4_S4_
                                        ; -- End function
	.set _Z6kernelI14inclusive_scanN15benchmark_utils11custom_typeIddEELj256ELj32ELj100EEvPKT0_PS4_S4_.num_vgpr, 10
	.set _Z6kernelI14inclusive_scanN15benchmark_utils11custom_typeIddEELj256ELj32ELj100EEvPKT0_PS4_S4_.num_agpr, 0
	.set _Z6kernelI14inclusive_scanN15benchmark_utils11custom_typeIddEELj256ELj32ELj100EEvPKT0_PS4_S4_.numbered_sgpr, 13
	.set _Z6kernelI14inclusive_scanN15benchmark_utils11custom_typeIddEELj256ELj32ELj100EEvPKT0_PS4_S4_.num_named_barrier, 0
	.set _Z6kernelI14inclusive_scanN15benchmark_utils11custom_typeIddEELj256ELj32ELj100EEvPKT0_PS4_S4_.private_seg_size, 0
	.set _Z6kernelI14inclusive_scanN15benchmark_utils11custom_typeIddEELj256ELj32ELj100EEvPKT0_PS4_S4_.uses_vcc, 1
	.set _Z6kernelI14inclusive_scanN15benchmark_utils11custom_typeIddEELj256ELj32ELj100EEvPKT0_PS4_S4_.uses_flat_scratch, 0
	.set _Z6kernelI14inclusive_scanN15benchmark_utils11custom_typeIddEELj256ELj32ELj100EEvPKT0_PS4_S4_.has_dyn_sized_stack, 0
	.set _Z6kernelI14inclusive_scanN15benchmark_utils11custom_typeIddEELj256ELj32ELj100EEvPKT0_PS4_S4_.has_recursion, 0
	.set _Z6kernelI14inclusive_scanN15benchmark_utils11custom_typeIddEELj256ELj32ELj100EEvPKT0_PS4_S4_.has_indirect_call, 0
	.section	.AMDGPU.csdata,"",@progbits
; Kernel info:
; codeLenInByte = 496
; TotalNumSgprs: 17
; NumVgprs: 10
; ScratchSize: 0
; MemoryBound: 0
; FloatMode: 240
; IeeeMode: 1
; LDSByteSize: 0 bytes/workgroup (compile time only)
; SGPRBlocks: 2
; VGPRBlocks: 2
; NumSGPRsForWavesPerEU: 17
; NumVGPRsForWavesPerEU: 10
; Occupancy: 10
; WaveLimiterHint : 0
; COMPUTE_PGM_RSRC2:SCRATCH_EN: 0
; COMPUTE_PGM_RSRC2:USER_SGPR: 6
; COMPUTE_PGM_RSRC2:TRAP_HANDLER: 0
; COMPUTE_PGM_RSRC2:TGID_X_EN: 1
; COMPUTE_PGM_RSRC2:TGID_Y_EN: 0
; COMPUTE_PGM_RSRC2:TGID_Z_EN: 0
; COMPUTE_PGM_RSRC2:TIDIG_COMP_CNT: 0
	.section	.text._Z6kernelI14inclusive_scanN15benchmark_utils11custom_typeIddEELj63ELj63ELj100EEvPKT0_PS4_S4_,"axG",@progbits,_Z6kernelI14inclusive_scanN15benchmark_utils11custom_typeIddEELj63ELj63ELj100EEvPKT0_PS4_S4_,comdat
	.protected	_Z6kernelI14inclusive_scanN15benchmark_utils11custom_typeIddEELj63ELj63ELj100EEvPKT0_PS4_S4_ ; -- Begin function _Z6kernelI14inclusive_scanN15benchmark_utils11custom_typeIddEELj63ELj63ELj100EEvPKT0_PS4_S4_
	.globl	_Z6kernelI14inclusive_scanN15benchmark_utils11custom_typeIddEELj63ELj63ELj100EEvPKT0_PS4_S4_
	.p2align	8
	.type	_Z6kernelI14inclusive_scanN15benchmark_utils11custom_typeIddEELj63ELj63ELj100EEvPKT0_PS4_S4_,@function
_Z6kernelI14inclusive_scanN15benchmark_utils11custom_typeIddEELj63ELj63ELj100EEvPKT0_PS4_S4_: ; @_Z6kernelI14inclusive_scanN15benchmark_utils11custom_typeIddEELj63ELj63ELj100EEvPKT0_PS4_S4_
; %bb.0:
	s_load_dword s0, s[4:5], 0x2c
	s_load_dwordx4 s[8:11], s[4:5], 0x0
	v_mov_b32_e32 v1, 0
	v_mbcnt_lo_u32_b32 v6, -1, 0
	v_mbcnt_hi_u32_b32 v6, -1, v6
	s_waitcnt lgkmcnt(0)
	s_and_b32 s0, s0, 0xffff
	s_mul_i32 s6, s6, s0
	v_add_u32_e32 v0, s6, v0
	v_lshlrev_b64 v[4:5], 4, v[0:1]
	v_mov_b32_e32 v1, s9
	v_add_co_u32_e32 v0, vcc, s8, v4
	v_addc_co_u32_e32 v1, vcc, v1, v5, vcc
	global_load_dwordx4 v[0:3], v[0:1], off
	s_mov_b32 s0, 0x4104105
	v_mul_hi_u32 v7, v6, s0
	s_movk_i32 s14, 0x64
	v_mul_u32_u24_e32 v7, 63, v7
	v_sub_u32_e32 v7, v6, v7
	v_lshlrev_b32_e32 v6, 4, v7
	v_cmp_ne_u32_e32 vcc, 0, v7
	v_cmp_lt_u32_e64 s[0:1], 1, v7
	v_cmp_lt_u32_e64 s[2:3], 3, v7
	;; [unrolled: 1-line block ×5, first 2 shown]
	v_add_u32_e32 v7, -16, v6
	v_subrev_u32_e32 v8, 32, v6
	v_subrev_u32_e32 v9, 64, v6
	v_add_u32_e32 v10, 0xffffff80, v6
	v_add_u32_e32 v11, 0xffffff00, v6
	;; [unrolled: 1-line block ×3, first 2 shown]
	s_branch .LBB36_2
.LBB36_1:                               ;   in Loop: Header=BB36_2 Depth=1
	s_or_b64 exec, exec, s[12:13]
	s_add_i32 s14, s14, -1
	s_cmp_lg_u32 s14, 0
	; wave barrier
	s_cbranch_scc0 .LBB36_26
.LBB36_2:                               ; =>This Inner Loop Header: Depth=1
	s_waitcnt vmcnt(0)
	ds_write2_b64 v6, v[0:1], v[2:3] offset1:1
	; wave barrier
	s_and_saveexec_b64 s[12:13], vcc
	s_cbranch_execz .LBB36_4
; %bb.3:                                ;   in Loop: Header=BB36_2 Depth=1
	ds_read2_b64 v[13:16], v7 offset1:1
	s_waitcnt lgkmcnt(0)
	v_add_f64 v[0:1], v[0:1], v[13:14]
	v_add_f64 v[2:3], v[2:3], v[15:16]
.LBB36_4:                               ;   in Loop: Header=BB36_2 Depth=1
	s_or_b64 exec, exec, s[12:13]
	; wave barrier
	s_and_saveexec_b64 s[12:13], vcc
; %bb.5:                                ;   in Loop: Header=BB36_2 Depth=1
	ds_write2_b64 v6, v[0:1], v[2:3] offset1:1
; %bb.6:                                ;   in Loop: Header=BB36_2 Depth=1
	s_or_b64 exec, exec, s[12:13]
	; wave barrier
	s_and_saveexec_b64 s[12:13], s[0:1]
	s_cbranch_execz .LBB36_8
; %bb.7:                                ;   in Loop: Header=BB36_2 Depth=1
	ds_read2_b64 v[13:16], v8 offset1:1
	s_waitcnt lgkmcnt(0)
	v_add_f64 v[0:1], v[0:1], v[13:14]
	v_add_f64 v[2:3], v[2:3], v[15:16]
.LBB36_8:                               ;   in Loop: Header=BB36_2 Depth=1
	s_or_b64 exec, exec, s[12:13]
	; wave barrier
	s_and_saveexec_b64 s[12:13], s[0:1]
; %bb.9:                                ;   in Loop: Header=BB36_2 Depth=1
	ds_write2_b64 v6, v[0:1], v[2:3] offset1:1
; %bb.10:                               ;   in Loop: Header=BB36_2 Depth=1
	s_or_b64 exec, exec, s[12:13]
	; wave barrier
	s_and_saveexec_b64 s[12:13], s[2:3]
	s_cbranch_execz .LBB36_12
; %bb.11:                               ;   in Loop: Header=BB36_2 Depth=1
	ds_read2_b64 v[13:16], v9 offset1:1
	s_waitcnt lgkmcnt(0)
	v_add_f64 v[0:1], v[0:1], v[13:14]
	v_add_f64 v[2:3], v[2:3], v[15:16]
.LBB36_12:                              ;   in Loop: Header=BB36_2 Depth=1
	s_or_b64 exec, exec, s[12:13]
	; wave barrier
	s_and_saveexec_b64 s[12:13], s[2:3]
; %bb.13:                               ;   in Loop: Header=BB36_2 Depth=1
	ds_write2_b64 v6, v[0:1], v[2:3] offset1:1
; %bb.14:                               ;   in Loop: Header=BB36_2 Depth=1
	s_or_b64 exec, exec, s[12:13]
	; wave barrier
	s_and_saveexec_b64 s[12:13], s[4:5]
	s_cbranch_execz .LBB36_16
; %bb.15:                               ;   in Loop: Header=BB36_2 Depth=1
	ds_read2_b64 v[13:16], v10 offset1:1
	s_waitcnt lgkmcnt(0)
	v_add_f64 v[0:1], v[0:1], v[13:14]
	v_add_f64 v[2:3], v[2:3], v[15:16]
.LBB36_16:                              ;   in Loop: Header=BB36_2 Depth=1
	s_or_b64 exec, exec, s[12:13]
	; wave barrier
	s_and_saveexec_b64 s[12:13], s[4:5]
; %bb.17:                               ;   in Loop: Header=BB36_2 Depth=1
	;; [unrolled: 16-line block ×3, first 2 shown]
	ds_write2_b64 v6, v[0:1], v[2:3] offset1:1
; %bb.22:                               ;   in Loop: Header=BB36_2 Depth=1
	s_or_b64 exec, exec, s[12:13]
	; wave barrier
	s_and_saveexec_b64 s[12:13], s[8:9]
	s_cbranch_execz .LBB36_24
; %bb.23:                               ;   in Loop: Header=BB36_2 Depth=1
	ds_read2_b64 v[13:16], v12 offset1:1
	s_waitcnt lgkmcnt(0)
	v_add_f64 v[0:1], v[0:1], v[13:14]
	v_add_f64 v[2:3], v[2:3], v[15:16]
.LBB36_24:                              ;   in Loop: Header=BB36_2 Depth=1
	s_or_b64 exec, exec, s[12:13]
	; wave barrier
	s_and_saveexec_b64 s[12:13], s[8:9]
	s_cbranch_execz .LBB36_1
; %bb.25:                               ;   in Loop: Header=BB36_2 Depth=1
	ds_write2_b64 v6, v[0:1], v[2:3] offset1:1
	s_branch .LBB36_1
.LBB36_26:
	v_mov_b32_e32 v6, s11
	v_add_co_u32_e32 v4, vcc, s10, v4
	v_addc_co_u32_e32 v5, vcc, v6, v5, vcc
	global_store_dwordx4 v[4:5], v[0:3], off
	s_endpgm
	.section	.rodata,"a",@progbits
	.p2align	6, 0x0
	.amdhsa_kernel _Z6kernelI14inclusive_scanN15benchmark_utils11custom_typeIddEELj63ELj63ELj100EEvPKT0_PS4_S4_
		.amdhsa_group_segment_fixed_size 1008
		.amdhsa_private_segment_fixed_size 0
		.amdhsa_kernarg_size 288
		.amdhsa_user_sgpr_count 6
		.amdhsa_user_sgpr_private_segment_buffer 1
		.amdhsa_user_sgpr_dispatch_ptr 0
		.amdhsa_user_sgpr_queue_ptr 0
		.amdhsa_user_sgpr_kernarg_segment_ptr 1
		.amdhsa_user_sgpr_dispatch_id 0
		.amdhsa_user_sgpr_flat_scratch_init 0
		.amdhsa_user_sgpr_private_segment_size 0
		.amdhsa_uses_dynamic_stack 0
		.amdhsa_system_sgpr_private_segment_wavefront_offset 0
		.amdhsa_system_sgpr_workgroup_id_x 1
		.amdhsa_system_sgpr_workgroup_id_y 0
		.amdhsa_system_sgpr_workgroup_id_z 0
		.amdhsa_system_sgpr_workgroup_info 0
		.amdhsa_system_vgpr_workitem_id 0
		.amdhsa_next_free_vgpr 17
		.amdhsa_next_free_sgpr 15
		.amdhsa_reserve_vcc 1
		.amdhsa_reserve_flat_scratch 0
		.amdhsa_float_round_mode_32 0
		.amdhsa_float_round_mode_16_64 0
		.amdhsa_float_denorm_mode_32 3
		.amdhsa_float_denorm_mode_16_64 3
		.amdhsa_dx10_clamp 1
		.amdhsa_ieee_mode 1
		.amdhsa_fp16_overflow 0
		.amdhsa_exception_fp_ieee_invalid_op 0
		.amdhsa_exception_fp_denorm_src 0
		.amdhsa_exception_fp_ieee_div_zero 0
		.amdhsa_exception_fp_ieee_overflow 0
		.amdhsa_exception_fp_ieee_underflow 0
		.amdhsa_exception_fp_ieee_inexact 0
		.amdhsa_exception_int_div_zero 0
	.end_amdhsa_kernel
	.section	.text._Z6kernelI14inclusive_scanN15benchmark_utils11custom_typeIddEELj63ELj63ELj100EEvPKT0_PS4_S4_,"axG",@progbits,_Z6kernelI14inclusive_scanN15benchmark_utils11custom_typeIddEELj63ELj63ELj100EEvPKT0_PS4_S4_,comdat
.Lfunc_end36:
	.size	_Z6kernelI14inclusive_scanN15benchmark_utils11custom_typeIddEELj63ELj63ELj100EEvPKT0_PS4_S4_, .Lfunc_end36-_Z6kernelI14inclusive_scanN15benchmark_utils11custom_typeIddEELj63ELj63ELj100EEvPKT0_PS4_S4_
                                        ; -- End function
	.set _Z6kernelI14inclusive_scanN15benchmark_utils11custom_typeIddEELj63ELj63ELj100EEvPKT0_PS4_S4_.num_vgpr, 17
	.set _Z6kernelI14inclusive_scanN15benchmark_utils11custom_typeIddEELj63ELj63ELj100EEvPKT0_PS4_S4_.num_agpr, 0
	.set _Z6kernelI14inclusive_scanN15benchmark_utils11custom_typeIddEELj63ELj63ELj100EEvPKT0_PS4_S4_.numbered_sgpr, 15
	.set _Z6kernelI14inclusive_scanN15benchmark_utils11custom_typeIddEELj63ELj63ELj100EEvPKT0_PS4_S4_.num_named_barrier, 0
	.set _Z6kernelI14inclusive_scanN15benchmark_utils11custom_typeIddEELj63ELj63ELj100EEvPKT0_PS4_S4_.private_seg_size, 0
	.set _Z6kernelI14inclusive_scanN15benchmark_utils11custom_typeIddEELj63ELj63ELj100EEvPKT0_PS4_S4_.uses_vcc, 1
	.set _Z6kernelI14inclusive_scanN15benchmark_utils11custom_typeIddEELj63ELj63ELj100EEvPKT0_PS4_S4_.uses_flat_scratch, 0
	.set _Z6kernelI14inclusive_scanN15benchmark_utils11custom_typeIddEELj63ELj63ELj100EEvPKT0_PS4_S4_.has_dyn_sized_stack, 0
	.set _Z6kernelI14inclusive_scanN15benchmark_utils11custom_typeIddEELj63ELj63ELj100EEvPKT0_PS4_S4_.has_recursion, 0
	.set _Z6kernelI14inclusive_scanN15benchmark_utils11custom_typeIddEELj63ELj63ELj100EEvPKT0_PS4_S4_.has_indirect_call, 0
	.section	.AMDGPU.csdata,"",@progbits
; Kernel info:
; codeLenInByte = 592
; TotalNumSgprs: 19
; NumVgprs: 17
; ScratchSize: 0
; MemoryBound: 0
; FloatMode: 240
; IeeeMode: 1
; LDSByteSize: 1008 bytes/workgroup (compile time only)
; SGPRBlocks: 2
; VGPRBlocks: 4
; NumSGPRsForWavesPerEU: 19
; NumVGPRsForWavesPerEU: 17
; Occupancy: 10
; WaveLimiterHint : 0
; COMPUTE_PGM_RSRC2:SCRATCH_EN: 0
; COMPUTE_PGM_RSRC2:USER_SGPR: 6
; COMPUTE_PGM_RSRC2:TRAP_HANDLER: 0
; COMPUTE_PGM_RSRC2:TGID_X_EN: 1
; COMPUTE_PGM_RSRC2:TGID_Y_EN: 0
; COMPUTE_PGM_RSRC2:TGID_Z_EN: 0
; COMPUTE_PGM_RSRC2:TIDIG_COMP_CNT: 0
	.section	.text._Z6kernelI14inclusive_scanN15benchmark_utils11custom_typeIddEELj64ELj64ELj100EEvPKT0_PS4_S4_,"axG",@progbits,_Z6kernelI14inclusive_scanN15benchmark_utils11custom_typeIddEELj64ELj64ELj100EEvPKT0_PS4_S4_,comdat
	.protected	_Z6kernelI14inclusive_scanN15benchmark_utils11custom_typeIddEELj64ELj64ELj100EEvPKT0_PS4_S4_ ; -- Begin function _Z6kernelI14inclusive_scanN15benchmark_utils11custom_typeIddEELj64ELj64ELj100EEvPKT0_PS4_S4_
	.globl	_Z6kernelI14inclusive_scanN15benchmark_utils11custom_typeIddEELj64ELj64ELj100EEvPKT0_PS4_S4_
	.p2align	8
	.type	_Z6kernelI14inclusive_scanN15benchmark_utils11custom_typeIddEELj64ELj64ELj100EEvPKT0_PS4_S4_,@function
_Z6kernelI14inclusive_scanN15benchmark_utils11custom_typeIddEELj64ELj64ELj100EEvPKT0_PS4_S4_: ; @_Z6kernelI14inclusive_scanN15benchmark_utils11custom_typeIddEELj64ELj64ELj100EEvPKT0_PS4_S4_
; %bb.0:
	s_load_dword s0, s[4:5], 0x2c
	s_load_dwordx4 s[8:11], s[4:5], 0x0
	v_mov_b32_e32 v1, 0
	v_mbcnt_lo_u32_b32 v6, -1, 0
	v_mbcnt_hi_u32_b32 v6, -1, v6
	s_waitcnt lgkmcnt(0)
	s_and_b32 s0, s0, 0xffff
	s_mul_i32 s6, s6, s0
	v_add_u32_e32 v0, s6, v0
	v_lshlrev_b64 v[4:5], 4, v[0:1]
	v_mov_b32_e32 v1, s9
	v_add_co_u32_e32 v0, vcc, s8, v4
	v_addc_co_u32_e32 v1, vcc, v1, v5, vcc
	global_load_dwordx4 v[0:3], v[0:1], off
	v_and_b32_e32 v7, 15, v6
	v_cmp_ne_u32_e32 vcc, 0, v7
	v_cmp_lt_u32_e64 s[0:1], 1, v7
	v_cmp_lt_u32_e64 s[2:3], 3, v7
	;; [unrolled: 1-line block ×3, first 2 shown]
	v_and_b32_e32 v7, 16, v6
	v_cmp_ne_u32_e64 s[6:7], 0, v7
	v_cmp_lt_u32_e64 s[8:9], 31, v6
	s_movk_i32 s14, 0x64
	s_branch .LBB37_2
.LBB37_1:                               ;   in Loop: Header=BB37_2 Depth=1
	s_or_b64 exec, exec, s[12:13]
	s_add_i32 s14, s14, -1
	s_cmp_lg_u32 s14, 0
	s_cbranch_scc0 .LBB37_14
.LBB37_2:                               ; =>This Inner Loop Header: Depth=1
	s_waitcnt vmcnt(0)
	v_mov_b32_dpp v6, v0 row_shr:1 row_mask:0xf bank_mask:0xf
	v_mov_b32_dpp v7, v1 row_shr:1 row_mask:0xf bank_mask:0xf
	;; [unrolled: 1-line block ×4, first 2 shown]
	s_and_saveexec_b64 s[12:13], vcc
	s_cbranch_execz .LBB37_4
; %bb.3:                                ;   in Loop: Header=BB37_2 Depth=1
	v_add_f64 v[2:3], v[2:3], v[8:9]
	v_add_f64 v[0:1], v[0:1], v[6:7]
.LBB37_4:                               ;   in Loop: Header=BB37_2 Depth=1
	s_or_b64 exec, exec, s[12:13]
	s_nop 0
	v_mov_b32_dpp v6, v0 row_shr:2 row_mask:0xf bank_mask:0xf
	v_mov_b32_dpp v7, v1 row_shr:2 row_mask:0xf bank_mask:0xf
	v_mov_b32_dpp v8, v2 row_shr:2 row_mask:0xf bank_mask:0xf
	v_mov_b32_dpp v9, v3 row_shr:2 row_mask:0xf bank_mask:0xf
	s_and_saveexec_b64 s[12:13], s[0:1]
	s_cbranch_execz .LBB37_6
; %bb.5:                                ;   in Loop: Header=BB37_2 Depth=1
	v_add_f64 v[2:3], v[2:3], v[8:9]
	v_add_f64 v[0:1], v[0:1], v[6:7]
.LBB37_6:                               ;   in Loop: Header=BB37_2 Depth=1
	s_or_b64 exec, exec, s[12:13]
	s_nop 0
	v_mov_b32_dpp v6, v0 row_shr:4 row_mask:0xf bank_mask:0xf
	v_mov_b32_dpp v7, v1 row_shr:4 row_mask:0xf bank_mask:0xf
	v_mov_b32_dpp v8, v2 row_shr:4 row_mask:0xf bank_mask:0xf
	v_mov_b32_dpp v9, v3 row_shr:4 row_mask:0xf bank_mask:0xf
	s_and_saveexec_b64 s[12:13], s[2:3]
	;; [unrolled: 12-line block ×3, first 2 shown]
	s_cbranch_execz .LBB37_10
; %bb.9:                                ;   in Loop: Header=BB37_2 Depth=1
	v_add_f64 v[2:3], v[2:3], v[8:9]
	v_add_f64 v[0:1], v[0:1], v[6:7]
.LBB37_10:                              ;   in Loop: Header=BB37_2 Depth=1
	s_or_b64 exec, exec, s[12:13]
	s_nop 0
	v_mov_b32_dpp v6, v0 row_bcast:15 row_mask:0xf bank_mask:0xf
	v_mov_b32_dpp v7, v1 row_bcast:15 row_mask:0xf bank_mask:0xf
	v_mov_b32_dpp v8, v2 row_bcast:15 row_mask:0xf bank_mask:0xf
	v_mov_b32_dpp v9, v3 row_bcast:15 row_mask:0xf bank_mask:0xf
	s_and_saveexec_b64 s[12:13], s[6:7]
	s_cbranch_execz .LBB37_12
; %bb.11:                               ;   in Loop: Header=BB37_2 Depth=1
	v_add_f64 v[2:3], v[2:3], v[8:9]
	v_add_f64 v[0:1], v[0:1], v[6:7]
.LBB37_12:                              ;   in Loop: Header=BB37_2 Depth=1
	s_or_b64 exec, exec, s[12:13]
	s_nop 0
	v_mov_b32_dpp v6, v0 row_bcast:31 row_mask:0xf bank_mask:0xf
	v_mov_b32_dpp v7, v1 row_bcast:31 row_mask:0xf bank_mask:0xf
	;; [unrolled: 1-line block ×4, first 2 shown]
	s_and_saveexec_b64 s[12:13], s[8:9]
	s_cbranch_execz .LBB37_1
; %bb.13:                               ;   in Loop: Header=BB37_2 Depth=1
	v_add_f64 v[2:3], v[2:3], v[8:9]
	v_add_f64 v[0:1], v[0:1], v[6:7]
	s_branch .LBB37_1
.LBB37_14:
	v_mov_b32_e32 v6, s11
	v_add_co_u32_e32 v4, vcc, s10, v4
	v_addc_co_u32_e32 v5, vcc, v6, v5, vcc
	global_store_dwordx4 v[4:5], v[0:3], off
	s_endpgm
	.section	.rodata,"a",@progbits
	.p2align	6, 0x0
	.amdhsa_kernel _Z6kernelI14inclusive_scanN15benchmark_utils11custom_typeIddEELj64ELj64ELj100EEvPKT0_PS4_S4_
		.amdhsa_group_segment_fixed_size 0
		.amdhsa_private_segment_fixed_size 0
		.amdhsa_kernarg_size 288
		.amdhsa_user_sgpr_count 6
		.amdhsa_user_sgpr_private_segment_buffer 1
		.amdhsa_user_sgpr_dispatch_ptr 0
		.amdhsa_user_sgpr_queue_ptr 0
		.amdhsa_user_sgpr_kernarg_segment_ptr 1
		.amdhsa_user_sgpr_dispatch_id 0
		.amdhsa_user_sgpr_flat_scratch_init 0
		.amdhsa_user_sgpr_private_segment_size 0
		.amdhsa_uses_dynamic_stack 0
		.amdhsa_system_sgpr_private_segment_wavefront_offset 0
		.amdhsa_system_sgpr_workgroup_id_x 1
		.amdhsa_system_sgpr_workgroup_id_y 0
		.amdhsa_system_sgpr_workgroup_id_z 0
		.amdhsa_system_sgpr_workgroup_info 0
		.amdhsa_system_vgpr_workitem_id 0
		.amdhsa_next_free_vgpr 10
		.amdhsa_next_free_sgpr 15
		.amdhsa_reserve_vcc 1
		.amdhsa_reserve_flat_scratch 0
		.amdhsa_float_round_mode_32 0
		.amdhsa_float_round_mode_16_64 0
		.amdhsa_float_denorm_mode_32 3
		.amdhsa_float_denorm_mode_16_64 3
		.amdhsa_dx10_clamp 1
		.amdhsa_ieee_mode 1
		.amdhsa_fp16_overflow 0
		.amdhsa_exception_fp_ieee_invalid_op 0
		.amdhsa_exception_fp_denorm_src 0
		.amdhsa_exception_fp_ieee_div_zero 0
		.amdhsa_exception_fp_ieee_overflow 0
		.amdhsa_exception_fp_ieee_underflow 0
		.amdhsa_exception_fp_ieee_inexact 0
		.amdhsa_exception_int_div_zero 0
	.end_amdhsa_kernel
	.section	.text._Z6kernelI14inclusive_scanN15benchmark_utils11custom_typeIddEELj64ELj64ELj100EEvPKT0_PS4_S4_,"axG",@progbits,_Z6kernelI14inclusive_scanN15benchmark_utils11custom_typeIddEELj64ELj64ELj100EEvPKT0_PS4_S4_,comdat
.Lfunc_end37:
	.size	_Z6kernelI14inclusive_scanN15benchmark_utils11custom_typeIddEELj64ELj64ELj100EEvPKT0_PS4_S4_, .Lfunc_end37-_Z6kernelI14inclusive_scanN15benchmark_utils11custom_typeIddEELj64ELj64ELj100EEvPKT0_PS4_S4_
                                        ; -- End function
	.set _Z6kernelI14inclusive_scanN15benchmark_utils11custom_typeIddEELj64ELj64ELj100EEvPKT0_PS4_S4_.num_vgpr, 10
	.set _Z6kernelI14inclusive_scanN15benchmark_utils11custom_typeIddEELj64ELj64ELj100EEvPKT0_PS4_S4_.num_agpr, 0
	.set _Z6kernelI14inclusive_scanN15benchmark_utils11custom_typeIddEELj64ELj64ELj100EEvPKT0_PS4_S4_.numbered_sgpr, 15
	.set _Z6kernelI14inclusive_scanN15benchmark_utils11custom_typeIddEELj64ELj64ELj100EEvPKT0_PS4_S4_.num_named_barrier, 0
	.set _Z6kernelI14inclusive_scanN15benchmark_utils11custom_typeIddEELj64ELj64ELj100EEvPKT0_PS4_S4_.private_seg_size, 0
	.set _Z6kernelI14inclusive_scanN15benchmark_utils11custom_typeIddEELj64ELj64ELj100EEvPKT0_PS4_S4_.uses_vcc, 1
	.set _Z6kernelI14inclusive_scanN15benchmark_utils11custom_typeIddEELj64ELj64ELj100EEvPKT0_PS4_S4_.uses_flat_scratch, 0
	.set _Z6kernelI14inclusive_scanN15benchmark_utils11custom_typeIddEELj64ELj64ELj100EEvPKT0_PS4_S4_.has_dyn_sized_stack, 0
	.set _Z6kernelI14inclusive_scanN15benchmark_utils11custom_typeIddEELj64ELj64ELj100EEvPKT0_PS4_S4_.has_recursion, 0
	.set _Z6kernelI14inclusive_scanN15benchmark_utils11custom_typeIddEELj64ELj64ELj100EEvPKT0_PS4_S4_.has_indirect_call, 0
	.section	.AMDGPU.csdata,"",@progbits
; Kernel info:
; codeLenInByte = 568
; TotalNumSgprs: 19
; NumVgprs: 10
; ScratchSize: 0
; MemoryBound: 0
; FloatMode: 240
; IeeeMode: 1
; LDSByteSize: 0 bytes/workgroup (compile time only)
; SGPRBlocks: 2
; VGPRBlocks: 2
; NumSGPRsForWavesPerEU: 19
; NumVGPRsForWavesPerEU: 10
; Occupancy: 10
; WaveLimiterHint : 0
; COMPUTE_PGM_RSRC2:SCRATCH_EN: 0
; COMPUTE_PGM_RSRC2:USER_SGPR: 6
; COMPUTE_PGM_RSRC2:TRAP_HANDLER: 0
; COMPUTE_PGM_RSRC2:TGID_X_EN: 1
; COMPUTE_PGM_RSRC2:TGID_Y_EN: 0
; COMPUTE_PGM_RSRC2:TGID_Z_EN: 0
; COMPUTE_PGM_RSRC2:TIDIG_COMP_CNT: 0
	.section	.text._Z6kernelI14inclusive_scanN15benchmark_utils11custom_typeIddEELj128ELj64ELj100EEvPKT0_PS4_S4_,"axG",@progbits,_Z6kernelI14inclusive_scanN15benchmark_utils11custom_typeIddEELj128ELj64ELj100EEvPKT0_PS4_S4_,comdat
	.protected	_Z6kernelI14inclusive_scanN15benchmark_utils11custom_typeIddEELj128ELj64ELj100EEvPKT0_PS4_S4_ ; -- Begin function _Z6kernelI14inclusive_scanN15benchmark_utils11custom_typeIddEELj128ELj64ELj100EEvPKT0_PS4_S4_
	.globl	_Z6kernelI14inclusive_scanN15benchmark_utils11custom_typeIddEELj128ELj64ELj100EEvPKT0_PS4_S4_
	.p2align	8
	.type	_Z6kernelI14inclusive_scanN15benchmark_utils11custom_typeIddEELj128ELj64ELj100EEvPKT0_PS4_S4_,@function
_Z6kernelI14inclusive_scanN15benchmark_utils11custom_typeIddEELj128ELj64ELj100EEvPKT0_PS4_S4_: ; @_Z6kernelI14inclusive_scanN15benchmark_utils11custom_typeIddEELj128ELj64ELj100EEvPKT0_PS4_S4_
; %bb.0:
	s_load_dword s0, s[4:5], 0x2c
	s_load_dwordx4 s[8:11], s[4:5], 0x0
	v_mov_b32_e32 v1, 0
	v_mbcnt_lo_u32_b32 v6, -1, 0
	v_mbcnt_hi_u32_b32 v6, -1, v6
	s_waitcnt lgkmcnt(0)
	s_and_b32 s0, s0, 0xffff
	s_mul_i32 s6, s6, s0
	v_add_u32_e32 v0, s6, v0
	v_lshlrev_b64 v[4:5], 4, v[0:1]
	v_mov_b32_e32 v1, s9
	v_add_co_u32_e32 v0, vcc, s8, v4
	v_addc_co_u32_e32 v1, vcc, v1, v5, vcc
	global_load_dwordx4 v[0:3], v[0:1], off
	v_and_b32_e32 v7, 15, v6
	v_cmp_ne_u32_e32 vcc, 0, v7
	v_cmp_lt_u32_e64 s[0:1], 1, v7
	v_cmp_lt_u32_e64 s[2:3], 3, v7
	;; [unrolled: 1-line block ×3, first 2 shown]
	v_and_b32_e32 v7, 16, v6
	v_cmp_ne_u32_e64 s[6:7], 0, v7
	v_cmp_lt_u32_e64 s[8:9], 31, v6
	s_movk_i32 s14, 0x64
	s_branch .LBB38_2
.LBB38_1:                               ;   in Loop: Header=BB38_2 Depth=1
	s_or_b64 exec, exec, s[12:13]
	s_add_i32 s14, s14, -1
	s_cmp_lg_u32 s14, 0
	s_cbranch_scc0 .LBB38_14
.LBB38_2:                               ; =>This Inner Loop Header: Depth=1
	s_waitcnt vmcnt(0)
	v_mov_b32_dpp v6, v0 row_shr:1 row_mask:0xf bank_mask:0xf
	v_mov_b32_dpp v7, v1 row_shr:1 row_mask:0xf bank_mask:0xf
	;; [unrolled: 1-line block ×4, first 2 shown]
	s_and_saveexec_b64 s[12:13], vcc
	s_cbranch_execz .LBB38_4
; %bb.3:                                ;   in Loop: Header=BB38_2 Depth=1
	v_add_f64 v[2:3], v[2:3], v[8:9]
	v_add_f64 v[0:1], v[0:1], v[6:7]
.LBB38_4:                               ;   in Loop: Header=BB38_2 Depth=1
	s_or_b64 exec, exec, s[12:13]
	s_nop 0
	v_mov_b32_dpp v6, v0 row_shr:2 row_mask:0xf bank_mask:0xf
	v_mov_b32_dpp v7, v1 row_shr:2 row_mask:0xf bank_mask:0xf
	v_mov_b32_dpp v8, v2 row_shr:2 row_mask:0xf bank_mask:0xf
	v_mov_b32_dpp v9, v3 row_shr:2 row_mask:0xf bank_mask:0xf
	s_and_saveexec_b64 s[12:13], s[0:1]
	s_cbranch_execz .LBB38_6
; %bb.5:                                ;   in Loop: Header=BB38_2 Depth=1
	v_add_f64 v[2:3], v[2:3], v[8:9]
	v_add_f64 v[0:1], v[0:1], v[6:7]
.LBB38_6:                               ;   in Loop: Header=BB38_2 Depth=1
	s_or_b64 exec, exec, s[12:13]
	s_nop 0
	v_mov_b32_dpp v6, v0 row_shr:4 row_mask:0xf bank_mask:0xf
	v_mov_b32_dpp v7, v1 row_shr:4 row_mask:0xf bank_mask:0xf
	v_mov_b32_dpp v8, v2 row_shr:4 row_mask:0xf bank_mask:0xf
	v_mov_b32_dpp v9, v3 row_shr:4 row_mask:0xf bank_mask:0xf
	s_and_saveexec_b64 s[12:13], s[2:3]
	;; [unrolled: 12-line block ×3, first 2 shown]
	s_cbranch_execz .LBB38_10
; %bb.9:                                ;   in Loop: Header=BB38_2 Depth=1
	v_add_f64 v[2:3], v[2:3], v[8:9]
	v_add_f64 v[0:1], v[0:1], v[6:7]
.LBB38_10:                              ;   in Loop: Header=BB38_2 Depth=1
	s_or_b64 exec, exec, s[12:13]
	s_nop 0
	v_mov_b32_dpp v6, v0 row_bcast:15 row_mask:0xf bank_mask:0xf
	v_mov_b32_dpp v7, v1 row_bcast:15 row_mask:0xf bank_mask:0xf
	;; [unrolled: 1-line block ×4, first 2 shown]
	s_and_saveexec_b64 s[12:13], s[6:7]
	s_cbranch_execz .LBB38_12
; %bb.11:                               ;   in Loop: Header=BB38_2 Depth=1
	v_add_f64 v[2:3], v[2:3], v[8:9]
	v_add_f64 v[0:1], v[0:1], v[6:7]
.LBB38_12:                              ;   in Loop: Header=BB38_2 Depth=1
	s_or_b64 exec, exec, s[12:13]
	s_nop 0
	v_mov_b32_dpp v6, v0 row_bcast:31 row_mask:0xf bank_mask:0xf
	v_mov_b32_dpp v7, v1 row_bcast:31 row_mask:0xf bank_mask:0xf
	v_mov_b32_dpp v8, v2 row_bcast:31 row_mask:0xf bank_mask:0xf
	v_mov_b32_dpp v9, v3 row_bcast:31 row_mask:0xf bank_mask:0xf
	s_and_saveexec_b64 s[12:13], s[8:9]
	s_cbranch_execz .LBB38_1
; %bb.13:                               ;   in Loop: Header=BB38_2 Depth=1
	v_add_f64 v[2:3], v[2:3], v[8:9]
	v_add_f64 v[0:1], v[0:1], v[6:7]
	s_branch .LBB38_1
.LBB38_14:
	v_mov_b32_e32 v6, s11
	v_add_co_u32_e32 v4, vcc, s10, v4
	v_addc_co_u32_e32 v5, vcc, v6, v5, vcc
	global_store_dwordx4 v[4:5], v[0:3], off
	s_endpgm
	.section	.rodata,"a",@progbits
	.p2align	6, 0x0
	.amdhsa_kernel _Z6kernelI14inclusive_scanN15benchmark_utils11custom_typeIddEELj128ELj64ELj100EEvPKT0_PS4_S4_
		.amdhsa_group_segment_fixed_size 0
		.amdhsa_private_segment_fixed_size 0
		.amdhsa_kernarg_size 288
		.amdhsa_user_sgpr_count 6
		.amdhsa_user_sgpr_private_segment_buffer 1
		.amdhsa_user_sgpr_dispatch_ptr 0
		.amdhsa_user_sgpr_queue_ptr 0
		.amdhsa_user_sgpr_kernarg_segment_ptr 1
		.amdhsa_user_sgpr_dispatch_id 0
		.amdhsa_user_sgpr_flat_scratch_init 0
		.amdhsa_user_sgpr_private_segment_size 0
		.amdhsa_uses_dynamic_stack 0
		.amdhsa_system_sgpr_private_segment_wavefront_offset 0
		.amdhsa_system_sgpr_workgroup_id_x 1
		.amdhsa_system_sgpr_workgroup_id_y 0
		.amdhsa_system_sgpr_workgroup_id_z 0
		.amdhsa_system_sgpr_workgroup_info 0
		.amdhsa_system_vgpr_workitem_id 0
		.amdhsa_next_free_vgpr 10
		.amdhsa_next_free_sgpr 15
		.amdhsa_reserve_vcc 1
		.amdhsa_reserve_flat_scratch 0
		.amdhsa_float_round_mode_32 0
		.amdhsa_float_round_mode_16_64 0
		.amdhsa_float_denorm_mode_32 3
		.amdhsa_float_denorm_mode_16_64 3
		.amdhsa_dx10_clamp 1
		.amdhsa_ieee_mode 1
		.amdhsa_fp16_overflow 0
		.amdhsa_exception_fp_ieee_invalid_op 0
		.amdhsa_exception_fp_denorm_src 0
		.amdhsa_exception_fp_ieee_div_zero 0
		.amdhsa_exception_fp_ieee_overflow 0
		.amdhsa_exception_fp_ieee_underflow 0
		.amdhsa_exception_fp_ieee_inexact 0
		.amdhsa_exception_int_div_zero 0
	.end_amdhsa_kernel
	.section	.text._Z6kernelI14inclusive_scanN15benchmark_utils11custom_typeIddEELj128ELj64ELj100EEvPKT0_PS4_S4_,"axG",@progbits,_Z6kernelI14inclusive_scanN15benchmark_utils11custom_typeIddEELj128ELj64ELj100EEvPKT0_PS4_S4_,comdat
.Lfunc_end38:
	.size	_Z6kernelI14inclusive_scanN15benchmark_utils11custom_typeIddEELj128ELj64ELj100EEvPKT0_PS4_S4_, .Lfunc_end38-_Z6kernelI14inclusive_scanN15benchmark_utils11custom_typeIddEELj128ELj64ELj100EEvPKT0_PS4_S4_
                                        ; -- End function
	.set _Z6kernelI14inclusive_scanN15benchmark_utils11custom_typeIddEELj128ELj64ELj100EEvPKT0_PS4_S4_.num_vgpr, 10
	.set _Z6kernelI14inclusive_scanN15benchmark_utils11custom_typeIddEELj128ELj64ELj100EEvPKT0_PS4_S4_.num_agpr, 0
	.set _Z6kernelI14inclusive_scanN15benchmark_utils11custom_typeIddEELj128ELj64ELj100EEvPKT0_PS4_S4_.numbered_sgpr, 15
	.set _Z6kernelI14inclusive_scanN15benchmark_utils11custom_typeIddEELj128ELj64ELj100EEvPKT0_PS4_S4_.num_named_barrier, 0
	.set _Z6kernelI14inclusive_scanN15benchmark_utils11custom_typeIddEELj128ELj64ELj100EEvPKT0_PS4_S4_.private_seg_size, 0
	.set _Z6kernelI14inclusive_scanN15benchmark_utils11custom_typeIddEELj128ELj64ELj100EEvPKT0_PS4_S4_.uses_vcc, 1
	.set _Z6kernelI14inclusive_scanN15benchmark_utils11custom_typeIddEELj128ELj64ELj100EEvPKT0_PS4_S4_.uses_flat_scratch, 0
	.set _Z6kernelI14inclusive_scanN15benchmark_utils11custom_typeIddEELj128ELj64ELj100EEvPKT0_PS4_S4_.has_dyn_sized_stack, 0
	.set _Z6kernelI14inclusive_scanN15benchmark_utils11custom_typeIddEELj128ELj64ELj100EEvPKT0_PS4_S4_.has_recursion, 0
	.set _Z6kernelI14inclusive_scanN15benchmark_utils11custom_typeIddEELj128ELj64ELj100EEvPKT0_PS4_S4_.has_indirect_call, 0
	.section	.AMDGPU.csdata,"",@progbits
; Kernel info:
; codeLenInByte = 568
; TotalNumSgprs: 19
; NumVgprs: 10
; ScratchSize: 0
; MemoryBound: 0
; FloatMode: 240
; IeeeMode: 1
; LDSByteSize: 0 bytes/workgroup (compile time only)
; SGPRBlocks: 2
; VGPRBlocks: 2
; NumSGPRsForWavesPerEU: 19
; NumVGPRsForWavesPerEU: 10
; Occupancy: 10
; WaveLimiterHint : 0
; COMPUTE_PGM_RSRC2:SCRATCH_EN: 0
; COMPUTE_PGM_RSRC2:USER_SGPR: 6
; COMPUTE_PGM_RSRC2:TRAP_HANDLER: 0
; COMPUTE_PGM_RSRC2:TGID_X_EN: 1
; COMPUTE_PGM_RSRC2:TGID_Y_EN: 0
; COMPUTE_PGM_RSRC2:TGID_Z_EN: 0
; COMPUTE_PGM_RSRC2:TIDIG_COMP_CNT: 0
	.section	.text._Z6kernelI14inclusive_scanN15benchmark_utils11custom_typeIddEELj256ELj64ELj100EEvPKT0_PS4_S4_,"axG",@progbits,_Z6kernelI14inclusive_scanN15benchmark_utils11custom_typeIddEELj256ELj64ELj100EEvPKT0_PS4_S4_,comdat
	.protected	_Z6kernelI14inclusive_scanN15benchmark_utils11custom_typeIddEELj256ELj64ELj100EEvPKT0_PS4_S4_ ; -- Begin function _Z6kernelI14inclusive_scanN15benchmark_utils11custom_typeIddEELj256ELj64ELj100EEvPKT0_PS4_S4_
	.globl	_Z6kernelI14inclusive_scanN15benchmark_utils11custom_typeIddEELj256ELj64ELj100EEvPKT0_PS4_S4_
	.p2align	8
	.type	_Z6kernelI14inclusive_scanN15benchmark_utils11custom_typeIddEELj256ELj64ELj100EEvPKT0_PS4_S4_,@function
_Z6kernelI14inclusive_scanN15benchmark_utils11custom_typeIddEELj256ELj64ELj100EEvPKT0_PS4_S4_: ; @_Z6kernelI14inclusive_scanN15benchmark_utils11custom_typeIddEELj256ELj64ELj100EEvPKT0_PS4_S4_
; %bb.0:
	s_load_dword s0, s[4:5], 0x2c
	s_load_dwordx4 s[8:11], s[4:5], 0x0
	v_mov_b32_e32 v1, 0
	v_mbcnt_lo_u32_b32 v6, -1, 0
	v_mbcnt_hi_u32_b32 v6, -1, v6
	s_waitcnt lgkmcnt(0)
	s_and_b32 s0, s0, 0xffff
	s_mul_i32 s6, s6, s0
	v_add_u32_e32 v0, s6, v0
	v_lshlrev_b64 v[4:5], 4, v[0:1]
	v_mov_b32_e32 v1, s9
	v_add_co_u32_e32 v0, vcc, s8, v4
	v_addc_co_u32_e32 v1, vcc, v1, v5, vcc
	global_load_dwordx4 v[0:3], v[0:1], off
	v_and_b32_e32 v7, 15, v6
	v_cmp_ne_u32_e32 vcc, 0, v7
	v_cmp_lt_u32_e64 s[0:1], 1, v7
	v_cmp_lt_u32_e64 s[2:3], 3, v7
	;; [unrolled: 1-line block ×3, first 2 shown]
	v_and_b32_e32 v7, 16, v6
	v_cmp_ne_u32_e64 s[6:7], 0, v7
	v_cmp_lt_u32_e64 s[8:9], 31, v6
	s_movk_i32 s14, 0x64
	s_branch .LBB39_2
.LBB39_1:                               ;   in Loop: Header=BB39_2 Depth=1
	s_or_b64 exec, exec, s[12:13]
	s_add_i32 s14, s14, -1
	s_cmp_lg_u32 s14, 0
	s_cbranch_scc0 .LBB39_14
.LBB39_2:                               ; =>This Inner Loop Header: Depth=1
	s_waitcnt vmcnt(0)
	v_mov_b32_dpp v6, v0 row_shr:1 row_mask:0xf bank_mask:0xf
	v_mov_b32_dpp v7, v1 row_shr:1 row_mask:0xf bank_mask:0xf
	;; [unrolled: 1-line block ×4, first 2 shown]
	s_and_saveexec_b64 s[12:13], vcc
	s_cbranch_execz .LBB39_4
; %bb.3:                                ;   in Loop: Header=BB39_2 Depth=1
	v_add_f64 v[2:3], v[2:3], v[8:9]
	v_add_f64 v[0:1], v[0:1], v[6:7]
.LBB39_4:                               ;   in Loop: Header=BB39_2 Depth=1
	s_or_b64 exec, exec, s[12:13]
	s_nop 0
	v_mov_b32_dpp v6, v0 row_shr:2 row_mask:0xf bank_mask:0xf
	v_mov_b32_dpp v7, v1 row_shr:2 row_mask:0xf bank_mask:0xf
	v_mov_b32_dpp v8, v2 row_shr:2 row_mask:0xf bank_mask:0xf
	v_mov_b32_dpp v9, v3 row_shr:2 row_mask:0xf bank_mask:0xf
	s_and_saveexec_b64 s[12:13], s[0:1]
	s_cbranch_execz .LBB39_6
; %bb.5:                                ;   in Loop: Header=BB39_2 Depth=1
	v_add_f64 v[2:3], v[2:3], v[8:9]
	v_add_f64 v[0:1], v[0:1], v[6:7]
.LBB39_6:                               ;   in Loop: Header=BB39_2 Depth=1
	s_or_b64 exec, exec, s[12:13]
	s_nop 0
	v_mov_b32_dpp v6, v0 row_shr:4 row_mask:0xf bank_mask:0xf
	v_mov_b32_dpp v7, v1 row_shr:4 row_mask:0xf bank_mask:0xf
	v_mov_b32_dpp v8, v2 row_shr:4 row_mask:0xf bank_mask:0xf
	v_mov_b32_dpp v9, v3 row_shr:4 row_mask:0xf bank_mask:0xf
	s_and_saveexec_b64 s[12:13], s[2:3]
	;; [unrolled: 12-line block ×3, first 2 shown]
	s_cbranch_execz .LBB39_10
; %bb.9:                                ;   in Loop: Header=BB39_2 Depth=1
	v_add_f64 v[2:3], v[2:3], v[8:9]
	v_add_f64 v[0:1], v[0:1], v[6:7]
.LBB39_10:                              ;   in Loop: Header=BB39_2 Depth=1
	s_or_b64 exec, exec, s[12:13]
	s_nop 0
	v_mov_b32_dpp v6, v0 row_bcast:15 row_mask:0xf bank_mask:0xf
	v_mov_b32_dpp v7, v1 row_bcast:15 row_mask:0xf bank_mask:0xf
	;; [unrolled: 1-line block ×4, first 2 shown]
	s_and_saveexec_b64 s[12:13], s[6:7]
	s_cbranch_execz .LBB39_12
; %bb.11:                               ;   in Loop: Header=BB39_2 Depth=1
	v_add_f64 v[2:3], v[2:3], v[8:9]
	v_add_f64 v[0:1], v[0:1], v[6:7]
.LBB39_12:                              ;   in Loop: Header=BB39_2 Depth=1
	s_or_b64 exec, exec, s[12:13]
	s_nop 0
	v_mov_b32_dpp v6, v0 row_bcast:31 row_mask:0xf bank_mask:0xf
	v_mov_b32_dpp v7, v1 row_bcast:31 row_mask:0xf bank_mask:0xf
	;; [unrolled: 1-line block ×4, first 2 shown]
	s_and_saveexec_b64 s[12:13], s[8:9]
	s_cbranch_execz .LBB39_1
; %bb.13:                               ;   in Loop: Header=BB39_2 Depth=1
	v_add_f64 v[2:3], v[2:3], v[8:9]
	v_add_f64 v[0:1], v[0:1], v[6:7]
	s_branch .LBB39_1
.LBB39_14:
	v_mov_b32_e32 v6, s11
	v_add_co_u32_e32 v4, vcc, s10, v4
	v_addc_co_u32_e32 v5, vcc, v6, v5, vcc
	global_store_dwordx4 v[4:5], v[0:3], off
	s_endpgm
	.section	.rodata,"a",@progbits
	.p2align	6, 0x0
	.amdhsa_kernel _Z6kernelI14inclusive_scanN15benchmark_utils11custom_typeIddEELj256ELj64ELj100EEvPKT0_PS4_S4_
		.amdhsa_group_segment_fixed_size 0
		.amdhsa_private_segment_fixed_size 0
		.amdhsa_kernarg_size 288
		.amdhsa_user_sgpr_count 6
		.amdhsa_user_sgpr_private_segment_buffer 1
		.amdhsa_user_sgpr_dispatch_ptr 0
		.amdhsa_user_sgpr_queue_ptr 0
		.amdhsa_user_sgpr_kernarg_segment_ptr 1
		.amdhsa_user_sgpr_dispatch_id 0
		.amdhsa_user_sgpr_flat_scratch_init 0
		.amdhsa_user_sgpr_private_segment_size 0
		.amdhsa_uses_dynamic_stack 0
		.amdhsa_system_sgpr_private_segment_wavefront_offset 0
		.amdhsa_system_sgpr_workgroup_id_x 1
		.amdhsa_system_sgpr_workgroup_id_y 0
		.amdhsa_system_sgpr_workgroup_id_z 0
		.amdhsa_system_sgpr_workgroup_info 0
		.amdhsa_system_vgpr_workitem_id 0
		.amdhsa_next_free_vgpr 10
		.amdhsa_next_free_sgpr 15
		.amdhsa_reserve_vcc 1
		.amdhsa_reserve_flat_scratch 0
		.amdhsa_float_round_mode_32 0
		.amdhsa_float_round_mode_16_64 0
		.amdhsa_float_denorm_mode_32 3
		.amdhsa_float_denorm_mode_16_64 3
		.amdhsa_dx10_clamp 1
		.amdhsa_ieee_mode 1
		.amdhsa_fp16_overflow 0
		.amdhsa_exception_fp_ieee_invalid_op 0
		.amdhsa_exception_fp_denorm_src 0
		.amdhsa_exception_fp_ieee_div_zero 0
		.amdhsa_exception_fp_ieee_overflow 0
		.amdhsa_exception_fp_ieee_underflow 0
		.amdhsa_exception_fp_ieee_inexact 0
		.amdhsa_exception_int_div_zero 0
	.end_amdhsa_kernel
	.section	.text._Z6kernelI14inclusive_scanN15benchmark_utils11custom_typeIddEELj256ELj64ELj100EEvPKT0_PS4_S4_,"axG",@progbits,_Z6kernelI14inclusive_scanN15benchmark_utils11custom_typeIddEELj256ELj64ELj100EEvPKT0_PS4_S4_,comdat
.Lfunc_end39:
	.size	_Z6kernelI14inclusive_scanN15benchmark_utils11custom_typeIddEELj256ELj64ELj100EEvPKT0_PS4_S4_, .Lfunc_end39-_Z6kernelI14inclusive_scanN15benchmark_utils11custom_typeIddEELj256ELj64ELj100EEvPKT0_PS4_S4_
                                        ; -- End function
	.set _Z6kernelI14inclusive_scanN15benchmark_utils11custom_typeIddEELj256ELj64ELj100EEvPKT0_PS4_S4_.num_vgpr, 10
	.set _Z6kernelI14inclusive_scanN15benchmark_utils11custom_typeIddEELj256ELj64ELj100EEvPKT0_PS4_S4_.num_agpr, 0
	.set _Z6kernelI14inclusive_scanN15benchmark_utils11custom_typeIddEELj256ELj64ELj100EEvPKT0_PS4_S4_.numbered_sgpr, 15
	.set _Z6kernelI14inclusive_scanN15benchmark_utils11custom_typeIddEELj256ELj64ELj100EEvPKT0_PS4_S4_.num_named_barrier, 0
	.set _Z6kernelI14inclusive_scanN15benchmark_utils11custom_typeIddEELj256ELj64ELj100EEvPKT0_PS4_S4_.private_seg_size, 0
	.set _Z6kernelI14inclusive_scanN15benchmark_utils11custom_typeIddEELj256ELj64ELj100EEvPKT0_PS4_S4_.uses_vcc, 1
	.set _Z6kernelI14inclusive_scanN15benchmark_utils11custom_typeIddEELj256ELj64ELj100EEvPKT0_PS4_S4_.uses_flat_scratch, 0
	.set _Z6kernelI14inclusive_scanN15benchmark_utils11custom_typeIddEELj256ELj64ELj100EEvPKT0_PS4_S4_.has_dyn_sized_stack, 0
	.set _Z6kernelI14inclusive_scanN15benchmark_utils11custom_typeIddEELj256ELj64ELj100EEvPKT0_PS4_S4_.has_recursion, 0
	.set _Z6kernelI14inclusive_scanN15benchmark_utils11custom_typeIddEELj256ELj64ELj100EEvPKT0_PS4_S4_.has_indirect_call, 0
	.section	.AMDGPU.csdata,"",@progbits
; Kernel info:
; codeLenInByte = 568
; TotalNumSgprs: 19
; NumVgprs: 10
; ScratchSize: 0
; MemoryBound: 0
; FloatMode: 240
; IeeeMode: 1
; LDSByteSize: 0 bytes/workgroup (compile time only)
; SGPRBlocks: 2
; VGPRBlocks: 2
; NumSGPRsForWavesPerEU: 19
; NumVGPRsForWavesPerEU: 10
; Occupancy: 10
; WaveLimiterHint : 0
; COMPUTE_PGM_RSRC2:SCRATCH_EN: 0
; COMPUTE_PGM_RSRC2:USER_SGPR: 6
; COMPUTE_PGM_RSRC2:TRAP_HANDLER: 0
; COMPUTE_PGM_RSRC2:TGID_X_EN: 1
; COMPUTE_PGM_RSRC2:TGID_Y_EN: 0
; COMPUTE_PGM_RSRC2:TGID_Z_EN: 0
; COMPUTE_PGM_RSRC2:TIDIG_COMP_CNT: 0
	.section	.text._Z6kernelI14inclusive_scanN15benchmark_utils11custom_typeIidEELj60ELj15ELj100EEvPKT0_PS4_S4_,"axG",@progbits,_Z6kernelI14inclusive_scanN15benchmark_utils11custom_typeIidEELj60ELj15ELj100EEvPKT0_PS4_S4_,comdat
	.protected	_Z6kernelI14inclusive_scanN15benchmark_utils11custom_typeIidEELj60ELj15ELj100EEvPKT0_PS4_S4_ ; -- Begin function _Z6kernelI14inclusive_scanN15benchmark_utils11custom_typeIidEELj60ELj15ELj100EEvPKT0_PS4_S4_
	.globl	_Z6kernelI14inclusive_scanN15benchmark_utils11custom_typeIidEELj60ELj15ELj100EEvPKT0_PS4_S4_
	.p2align	8
	.type	_Z6kernelI14inclusive_scanN15benchmark_utils11custom_typeIidEELj60ELj15ELj100EEvPKT0_PS4_S4_,@function
_Z6kernelI14inclusive_scanN15benchmark_utils11custom_typeIidEELj60ELj15ELj100EEvPKT0_PS4_S4_: ; @_Z6kernelI14inclusive_scanN15benchmark_utils11custom_typeIidEELj60ELj15ELj100EEvPKT0_PS4_S4_
; %bb.0:
	s_load_dword s0, s[4:5], 0x2c
	s_load_dwordx4 s[8:11], s[4:5], 0x0
	v_mov_b32_e32 v1, 0
	s_waitcnt lgkmcnt(0)
	s_and_b32 s0, s0, 0xffff
	s_mul_i32 s6, s6, s0
	v_add_u32_e32 v0, s6, v0
	v_lshlrev_b64 v[0:1], 4, v[0:1]
	v_mov_b32_e32 v2, s9
	v_add_co_u32_e32 v5, vcc, s8, v0
	v_addc_co_u32_e32 v6, vcc, v2, v1, vcc
	global_load_dword v4, v[5:6], off
	global_load_dwordx2 v[2:3], v[5:6], off offset:8
	v_mbcnt_lo_u32_b32 v5, -1, 0
	v_mbcnt_hi_u32_b32 v5, -1, v5
	s_mov_b32 s0, 0x11111112
	v_mul_hi_u32 v6, v5, s0
	s_movk_i32 s8, 0x64
	v_mul_u32_u24_e32 v6, 15, v6
	v_sub_u32_e32 v6, v5, v6
	v_lshlrev_b32_e32 v5, 4, v6
	v_cmp_ne_u32_e32 vcc, 0, v6
	v_cmp_lt_u32_e64 s[0:1], 1, v6
	v_cmp_lt_u32_e64 s[2:3], 3, v6
	;; [unrolled: 1-line block ×3, first 2 shown]
	v_add_u32_e32 v6, -8, v5
	v_add_u32_e32 v7, -16, v5
	v_subrev_u32_e32 v8, 24, v5
	v_subrev_u32_e32 v9, 32, v5
	;; [unrolled: 1-line block ×4, first 2 shown]
	v_add_u32_e32 v12, 0xffffff88, v5
	v_add_u32_e32 v13, 0xffffff80, v5
	s_branch .LBB40_2
.LBB40_1:                               ;   in Loop: Header=BB40_2 Depth=1
	s_or_b64 exec, exec, s[6:7]
	s_add_i32 s8, s8, -1
	s_cmp_lg_u32 s8, 0
	; wave barrier
	s_cbranch_scc0 .LBB40_18
.LBB40_2:                               ; =>This Inner Loop Header: Depth=1
	s_waitcnt vmcnt(1)
	ds_write_b32 v5, v4
	s_waitcnt vmcnt(0)
	ds_write_b64 v5, v[2:3] offset:8
	; wave barrier
	s_and_saveexec_b64 s[6:7], vcc
	s_cbranch_execz .LBB40_4
; %bb.3:                                ;   in Loop: Header=BB40_2 Depth=1
	ds_read_b64 v[14:15], v6
	s_waitcnt lgkmcnt(0)
	v_add_f64 v[2:3], v[2:3], v[14:15]
	ds_read_b32 v14, v7
	s_waitcnt lgkmcnt(0)
	v_add_u32_e32 v4, v14, v4
.LBB40_4:                               ;   in Loop: Header=BB40_2 Depth=1
	s_or_b64 exec, exec, s[6:7]
	; wave barrier
	s_and_saveexec_b64 s[6:7], vcc
	s_cbranch_execz .LBB40_6
; %bb.5:                                ;   in Loop: Header=BB40_2 Depth=1
	ds_write_b32 v5, v4
	ds_write_b64 v5, v[2:3] offset:8
.LBB40_6:                               ;   in Loop: Header=BB40_2 Depth=1
	s_or_b64 exec, exec, s[6:7]
	; wave barrier
	s_and_saveexec_b64 s[6:7], s[0:1]
	s_cbranch_execz .LBB40_8
; %bb.7:                                ;   in Loop: Header=BB40_2 Depth=1
	ds_read_b64 v[14:15], v8
	s_waitcnt lgkmcnt(0)
	v_add_f64 v[2:3], v[2:3], v[14:15]
	ds_read_b32 v14, v9
	s_waitcnt lgkmcnt(0)
	v_add_u32_e32 v4, v14, v4
.LBB40_8:                               ;   in Loop: Header=BB40_2 Depth=1
	s_or_b64 exec, exec, s[6:7]
	; wave barrier
	s_and_saveexec_b64 s[6:7], s[0:1]
	s_cbranch_execz .LBB40_10
; %bb.9:                                ;   in Loop: Header=BB40_2 Depth=1
	ds_write_b32 v5, v4
	ds_write_b64 v5, v[2:3] offset:8
.LBB40_10:                              ;   in Loop: Header=BB40_2 Depth=1
	s_or_b64 exec, exec, s[6:7]
	; wave barrier
	s_and_saveexec_b64 s[6:7], s[2:3]
	s_cbranch_execz .LBB40_12
; %bb.11:                               ;   in Loop: Header=BB40_2 Depth=1
	ds_read_b64 v[14:15], v10
	s_waitcnt lgkmcnt(0)
	v_add_f64 v[2:3], v[2:3], v[14:15]
	ds_read_b32 v14, v11
	s_waitcnt lgkmcnt(0)
	v_add_u32_e32 v4, v14, v4
.LBB40_12:                              ;   in Loop: Header=BB40_2 Depth=1
	s_or_b64 exec, exec, s[6:7]
	; wave barrier
	s_and_saveexec_b64 s[6:7], s[2:3]
	s_cbranch_execz .LBB40_14
; %bb.13:                               ;   in Loop: Header=BB40_2 Depth=1
	ds_write_b32 v5, v4
	ds_write_b64 v5, v[2:3] offset:8
.LBB40_14:                              ;   in Loop: Header=BB40_2 Depth=1
	s_or_b64 exec, exec, s[6:7]
	; wave barrier
	s_and_saveexec_b64 s[6:7], s[4:5]
	s_cbranch_execz .LBB40_16
; %bb.15:                               ;   in Loop: Header=BB40_2 Depth=1
	ds_read_b64 v[14:15], v12
	s_waitcnt lgkmcnt(0)
	v_add_f64 v[2:3], v[2:3], v[14:15]
	ds_read_b32 v14, v13
	s_waitcnt lgkmcnt(0)
	v_add_u32_e32 v4, v14, v4
.LBB40_16:                              ;   in Loop: Header=BB40_2 Depth=1
	s_or_b64 exec, exec, s[6:7]
	; wave barrier
	s_and_saveexec_b64 s[6:7], s[4:5]
	s_cbranch_execz .LBB40_1
; %bb.17:                               ;   in Loop: Header=BB40_2 Depth=1
	ds_write_b32 v5, v4
	ds_write_b64 v5, v[2:3] offset:8
	s_branch .LBB40_1
.LBB40_18:
	v_mov_b32_e32 v5, s11
	v_add_co_u32_e32 v0, vcc, s10, v0
	v_addc_co_u32_e32 v1, vcc, v5, v1, vcc
	global_store_dword v[0:1], v4, off
	global_store_dwordx2 v[0:1], v[2:3], off offset:8
	s_endpgm
	.section	.rodata,"a",@progbits
	.p2align	6, 0x0
	.amdhsa_kernel _Z6kernelI14inclusive_scanN15benchmark_utils11custom_typeIidEELj60ELj15ELj100EEvPKT0_PS4_S4_
		.amdhsa_group_segment_fixed_size 240
		.amdhsa_private_segment_fixed_size 0
		.amdhsa_kernarg_size 288
		.amdhsa_user_sgpr_count 6
		.amdhsa_user_sgpr_private_segment_buffer 1
		.amdhsa_user_sgpr_dispatch_ptr 0
		.amdhsa_user_sgpr_queue_ptr 0
		.amdhsa_user_sgpr_kernarg_segment_ptr 1
		.amdhsa_user_sgpr_dispatch_id 0
		.amdhsa_user_sgpr_flat_scratch_init 0
		.amdhsa_user_sgpr_private_segment_size 0
		.amdhsa_uses_dynamic_stack 0
		.amdhsa_system_sgpr_private_segment_wavefront_offset 0
		.amdhsa_system_sgpr_workgroup_id_x 1
		.amdhsa_system_sgpr_workgroup_id_y 0
		.amdhsa_system_sgpr_workgroup_id_z 0
		.amdhsa_system_sgpr_workgroup_info 0
		.amdhsa_system_vgpr_workitem_id 0
		.amdhsa_next_free_vgpr 16
		.amdhsa_next_free_sgpr 12
		.amdhsa_reserve_vcc 1
		.amdhsa_reserve_flat_scratch 0
		.amdhsa_float_round_mode_32 0
		.amdhsa_float_round_mode_16_64 0
		.amdhsa_float_denorm_mode_32 3
		.amdhsa_float_denorm_mode_16_64 3
		.amdhsa_dx10_clamp 1
		.amdhsa_ieee_mode 1
		.amdhsa_fp16_overflow 0
		.amdhsa_exception_fp_ieee_invalid_op 0
		.amdhsa_exception_fp_denorm_src 0
		.amdhsa_exception_fp_ieee_div_zero 0
		.amdhsa_exception_fp_ieee_overflow 0
		.amdhsa_exception_fp_ieee_underflow 0
		.amdhsa_exception_fp_ieee_inexact 0
		.amdhsa_exception_int_div_zero 0
	.end_amdhsa_kernel
	.section	.text._Z6kernelI14inclusive_scanN15benchmark_utils11custom_typeIidEELj60ELj15ELj100EEvPKT0_PS4_S4_,"axG",@progbits,_Z6kernelI14inclusive_scanN15benchmark_utils11custom_typeIidEELj60ELj15ELj100EEvPKT0_PS4_S4_,comdat
.Lfunc_end40:
	.size	_Z6kernelI14inclusive_scanN15benchmark_utils11custom_typeIidEELj60ELj15ELj100EEvPKT0_PS4_S4_, .Lfunc_end40-_Z6kernelI14inclusive_scanN15benchmark_utils11custom_typeIidEELj60ELj15ELj100EEvPKT0_PS4_S4_
                                        ; -- End function
	.set _Z6kernelI14inclusive_scanN15benchmark_utils11custom_typeIidEELj60ELj15ELj100EEvPKT0_PS4_S4_.num_vgpr, 16
	.set _Z6kernelI14inclusive_scanN15benchmark_utils11custom_typeIidEELj60ELj15ELj100EEvPKT0_PS4_S4_.num_agpr, 0
	.set _Z6kernelI14inclusive_scanN15benchmark_utils11custom_typeIidEELj60ELj15ELj100EEvPKT0_PS4_S4_.numbered_sgpr, 12
	.set _Z6kernelI14inclusive_scanN15benchmark_utils11custom_typeIidEELj60ELj15ELj100EEvPKT0_PS4_S4_.num_named_barrier, 0
	.set _Z6kernelI14inclusive_scanN15benchmark_utils11custom_typeIidEELj60ELj15ELj100EEvPKT0_PS4_S4_.private_seg_size, 0
	.set _Z6kernelI14inclusive_scanN15benchmark_utils11custom_typeIidEELj60ELj15ELj100EEvPKT0_PS4_S4_.uses_vcc, 1
	.set _Z6kernelI14inclusive_scanN15benchmark_utils11custom_typeIidEELj60ELj15ELj100EEvPKT0_PS4_S4_.uses_flat_scratch, 0
	.set _Z6kernelI14inclusive_scanN15benchmark_utils11custom_typeIidEELj60ELj15ELj100EEvPKT0_PS4_S4_.has_dyn_sized_stack, 0
	.set _Z6kernelI14inclusive_scanN15benchmark_utils11custom_typeIidEELj60ELj15ELj100EEvPKT0_PS4_S4_.has_recursion, 0
	.set _Z6kernelI14inclusive_scanN15benchmark_utils11custom_typeIidEELj60ELj15ELj100EEvPKT0_PS4_S4_.has_indirect_call, 0
	.section	.AMDGPU.csdata,"",@progbits
; Kernel info:
; codeLenInByte = 572
; TotalNumSgprs: 16
; NumVgprs: 16
; ScratchSize: 0
; MemoryBound: 0
; FloatMode: 240
; IeeeMode: 1
; LDSByteSize: 240 bytes/workgroup (compile time only)
; SGPRBlocks: 1
; VGPRBlocks: 3
; NumSGPRsForWavesPerEU: 16
; NumVGPRsForWavesPerEU: 16
; Occupancy: 10
; WaveLimiterHint : 0
; COMPUTE_PGM_RSRC2:SCRATCH_EN: 0
; COMPUTE_PGM_RSRC2:USER_SGPR: 6
; COMPUTE_PGM_RSRC2:TRAP_HANDLER: 0
; COMPUTE_PGM_RSRC2:TGID_X_EN: 1
; COMPUTE_PGM_RSRC2:TGID_Y_EN: 0
; COMPUTE_PGM_RSRC2:TGID_Z_EN: 0
; COMPUTE_PGM_RSRC2:TIDIG_COMP_CNT: 0
	.section	.text._Z6kernelI14inclusive_scanN15benchmark_utils11custom_typeIidEELj256ELj16ELj100EEvPKT0_PS4_S4_,"axG",@progbits,_Z6kernelI14inclusive_scanN15benchmark_utils11custom_typeIidEELj256ELj16ELj100EEvPKT0_PS4_S4_,comdat
	.protected	_Z6kernelI14inclusive_scanN15benchmark_utils11custom_typeIidEELj256ELj16ELj100EEvPKT0_PS4_S4_ ; -- Begin function _Z6kernelI14inclusive_scanN15benchmark_utils11custom_typeIidEELj256ELj16ELj100EEvPKT0_PS4_S4_
	.globl	_Z6kernelI14inclusive_scanN15benchmark_utils11custom_typeIidEELj256ELj16ELj100EEvPKT0_PS4_S4_
	.p2align	8
	.type	_Z6kernelI14inclusive_scanN15benchmark_utils11custom_typeIidEELj256ELj16ELj100EEvPKT0_PS4_S4_,@function
_Z6kernelI14inclusive_scanN15benchmark_utils11custom_typeIidEELj256ELj16ELj100EEvPKT0_PS4_S4_: ; @_Z6kernelI14inclusive_scanN15benchmark_utils11custom_typeIidEELj256ELj16ELj100EEvPKT0_PS4_S4_
; %bb.0:
	s_load_dword s0, s[4:5], 0x2c
	s_load_dwordx4 s[8:11], s[4:5], 0x0
	v_mov_b32_e32 v1, 0
	s_waitcnt lgkmcnt(0)
	s_and_b32 s0, s0, 0xffff
	s_mul_i32 s6, s6, s0
	v_add_u32_e32 v0, s6, v0
	v_lshlrev_b64 v[0:1], 4, v[0:1]
	v_mov_b32_e32 v2, s9
	v_add_co_u32_e32 v4, vcc, s8, v0
	v_addc_co_u32_e32 v5, vcc, v2, v1, vcc
	global_load_dword v6, v[4:5], off
	global_load_dwordx2 v[2:3], v[4:5], off offset:8
	v_mbcnt_lo_u32_b32 v4, -1, 0
	v_mbcnt_hi_u32_b32 v4, -1, v4
	v_and_b32_e32 v4, 15, v4
	v_cmp_ne_u32_e32 vcc, 0, v4
	v_cmp_lt_u32_e64 s[0:1], 1, v4
	v_cmp_lt_u32_e64 s[2:3], 3, v4
	;; [unrolled: 1-line block ×3, first 2 shown]
	s_movk_i32 s8, 0x64
	s_branch .LBB41_2
.LBB41_1:                               ;   in Loop: Header=BB41_2 Depth=1
	s_or_b64 exec, exec, s[6:7]
	s_add_i32 s8, s8, -1
	s_cmp_lg_u32 s8, 0
	s_cbranch_scc0 .LBB41_10
.LBB41_2:                               ; =>This Inner Loop Header: Depth=1
	s_waitcnt vmcnt(1)
	v_mov_b32_dpp v7, v6 row_shr:1 row_mask:0xf bank_mask:0xf
	s_waitcnt vmcnt(0)
	v_mov_b32_dpp v4, v2 row_shr:1 row_mask:0xf bank_mask:0xf
	v_mov_b32_dpp v5, v3 row_shr:1 row_mask:0xf bank_mask:0xf
	s_and_saveexec_b64 s[6:7], vcc
; %bb.3:                                ;   in Loop: Header=BB41_2 Depth=1
	v_add_f64 v[2:3], v[2:3], v[4:5]
	v_add_u32_e32 v6, v7, v6
; %bb.4:                                ;   in Loop: Header=BB41_2 Depth=1
	s_or_b64 exec, exec, s[6:7]
	s_nop 0
	v_mov_b32_dpp v7, v6 row_shr:2 row_mask:0xf bank_mask:0xf
	v_mov_b32_dpp v4, v2 row_shr:2 row_mask:0xf bank_mask:0xf
	v_mov_b32_dpp v5, v3 row_shr:2 row_mask:0xf bank_mask:0xf
	s_and_saveexec_b64 s[6:7], s[0:1]
; %bb.5:                                ;   in Loop: Header=BB41_2 Depth=1
	v_add_f64 v[2:3], v[2:3], v[4:5]
	v_add_u32_e32 v6, v7, v6
; %bb.6:                                ;   in Loop: Header=BB41_2 Depth=1
	s_or_b64 exec, exec, s[6:7]
	s_nop 0
	v_mov_b32_dpp v7, v6 row_shr:4 row_mask:0xf bank_mask:0xf
	v_mov_b32_dpp v4, v2 row_shr:4 row_mask:0xf bank_mask:0xf
	v_mov_b32_dpp v5, v3 row_shr:4 row_mask:0xf bank_mask:0xf
	s_and_saveexec_b64 s[6:7], s[2:3]
	;; [unrolled: 10-line block ×3, first 2 shown]
	s_cbranch_execz .LBB41_1
; %bb.9:                                ;   in Loop: Header=BB41_2 Depth=1
	v_add_f64 v[2:3], v[2:3], v[4:5]
	v_add_u32_e32 v6, v7, v6
	s_branch .LBB41_1
.LBB41_10:
	v_mov_b32_e32 v4, s11
	v_add_co_u32_e32 v0, vcc, s10, v0
	v_addc_co_u32_e32 v1, vcc, v4, v1, vcc
	global_store_dword v[0:1], v6, off
	global_store_dwordx2 v[0:1], v[2:3], off offset:8
	s_endpgm
	.section	.rodata,"a",@progbits
	.p2align	6, 0x0
	.amdhsa_kernel _Z6kernelI14inclusive_scanN15benchmark_utils11custom_typeIidEELj256ELj16ELj100EEvPKT0_PS4_S4_
		.amdhsa_group_segment_fixed_size 0
		.amdhsa_private_segment_fixed_size 0
		.amdhsa_kernarg_size 288
		.amdhsa_user_sgpr_count 6
		.amdhsa_user_sgpr_private_segment_buffer 1
		.amdhsa_user_sgpr_dispatch_ptr 0
		.amdhsa_user_sgpr_queue_ptr 0
		.amdhsa_user_sgpr_kernarg_segment_ptr 1
		.amdhsa_user_sgpr_dispatch_id 0
		.amdhsa_user_sgpr_flat_scratch_init 0
		.amdhsa_user_sgpr_private_segment_size 0
		.amdhsa_uses_dynamic_stack 0
		.amdhsa_system_sgpr_private_segment_wavefront_offset 0
		.amdhsa_system_sgpr_workgroup_id_x 1
		.amdhsa_system_sgpr_workgroup_id_y 0
		.amdhsa_system_sgpr_workgroup_id_z 0
		.amdhsa_system_sgpr_workgroup_info 0
		.amdhsa_system_vgpr_workitem_id 0
		.amdhsa_next_free_vgpr 8
		.amdhsa_next_free_sgpr 12
		.amdhsa_reserve_vcc 1
		.amdhsa_reserve_flat_scratch 0
		.amdhsa_float_round_mode_32 0
		.amdhsa_float_round_mode_16_64 0
		.amdhsa_float_denorm_mode_32 3
		.amdhsa_float_denorm_mode_16_64 3
		.amdhsa_dx10_clamp 1
		.amdhsa_ieee_mode 1
		.amdhsa_fp16_overflow 0
		.amdhsa_exception_fp_ieee_invalid_op 0
		.amdhsa_exception_fp_denorm_src 0
		.amdhsa_exception_fp_ieee_div_zero 0
		.amdhsa_exception_fp_ieee_overflow 0
		.amdhsa_exception_fp_ieee_underflow 0
		.amdhsa_exception_fp_ieee_inexact 0
		.amdhsa_exception_int_div_zero 0
	.end_amdhsa_kernel
	.section	.text._Z6kernelI14inclusive_scanN15benchmark_utils11custom_typeIidEELj256ELj16ELj100EEvPKT0_PS4_S4_,"axG",@progbits,_Z6kernelI14inclusive_scanN15benchmark_utils11custom_typeIidEELj256ELj16ELj100EEvPKT0_PS4_S4_,comdat
.Lfunc_end41:
	.size	_Z6kernelI14inclusive_scanN15benchmark_utils11custom_typeIidEELj256ELj16ELj100EEvPKT0_PS4_S4_, .Lfunc_end41-_Z6kernelI14inclusive_scanN15benchmark_utils11custom_typeIidEELj256ELj16ELj100EEvPKT0_PS4_S4_
                                        ; -- End function
	.set _Z6kernelI14inclusive_scanN15benchmark_utils11custom_typeIidEELj256ELj16ELj100EEvPKT0_PS4_S4_.num_vgpr, 8
	.set _Z6kernelI14inclusive_scanN15benchmark_utils11custom_typeIidEELj256ELj16ELj100EEvPKT0_PS4_S4_.num_agpr, 0
	.set _Z6kernelI14inclusive_scanN15benchmark_utils11custom_typeIidEELj256ELj16ELj100EEvPKT0_PS4_S4_.numbered_sgpr, 12
	.set _Z6kernelI14inclusive_scanN15benchmark_utils11custom_typeIidEELj256ELj16ELj100EEvPKT0_PS4_S4_.num_named_barrier, 0
	.set _Z6kernelI14inclusive_scanN15benchmark_utils11custom_typeIidEELj256ELj16ELj100EEvPKT0_PS4_S4_.private_seg_size, 0
	.set _Z6kernelI14inclusive_scanN15benchmark_utils11custom_typeIidEELj256ELj16ELj100EEvPKT0_PS4_S4_.uses_vcc, 1
	.set _Z6kernelI14inclusive_scanN15benchmark_utils11custom_typeIidEELj256ELj16ELj100EEvPKT0_PS4_S4_.uses_flat_scratch, 0
	.set _Z6kernelI14inclusive_scanN15benchmark_utils11custom_typeIidEELj256ELj16ELj100EEvPKT0_PS4_S4_.has_dyn_sized_stack, 0
	.set _Z6kernelI14inclusive_scanN15benchmark_utils11custom_typeIidEELj256ELj16ELj100EEvPKT0_PS4_S4_.has_recursion, 0
	.set _Z6kernelI14inclusive_scanN15benchmark_utils11custom_typeIidEELj256ELj16ELj100EEvPKT0_PS4_S4_.has_indirect_call, 0
	.section	.AMDGPU.csdata,"",@progbits
; Kernel info:
; codeLenInByte = 380
; TotalNumSgprs: 16
; NumVgprs: 8
; ScratchSize: 0
; MemoryBound: 0
; FloatMode: 240
; IeeeMode: 1
; LDSByteSize: 0 bytes/workgroup (compile time only)
; SGPRBlocks: 1
; VGPRBlocks: 1
; NumSGPRsForWavesPerEU: 16
; NumVGPRsForWavesPerEU: 8
; Occupancy: 10
; WaveLimiterHint : 0
; COMPUTE_PGM_RSRC2:SCRATCH_EN: 0
; COMPUTE_PGM_RSRC2:USER_SGPR: 6
; COMPUTE_PGM_RSRC2:TRAP_HANDLER: 0
; COMPUTE_PGM_RSRC2:TGID_X_EN: 1
; COMPUTE_PGM_RSRC2:TGID_Y_EN: 0
; COMPUTE_PGM_RSRC2:TGID_Z_EN: 0
; COMPUTE_PGM_RSRC2:TIDIG_COMP_CNT: 0
	.section	.text._Z6kernelI14inclusive_scanN15benchmark_utils11custom_typeIidEELj62ELj31ELj100EEvPKT0_PS4_S4_,"axG",@progbits,_Z6kernelI14inclusive_scanN15benchmark_utils11custom_typeIidEELj62ELj31ELj100EEvPKT0_PS4_S4_,comdat
	.protected	_Z6kernelI14inclusive_scanN15benchmark_utils11custom_typeIidEELj62ELj31ELj100EEvPKT0_PS4_S4_ ; -- Begin function _Z6kernelI14inclusive_scanN15benchmark_utils11custom_typeIidEELj62ELj31ELj100EEvPKT0_PS4_S4_
	.globl	_Z6kernelI14inclusive_scanN15benchmark_utils11custom_typeIidEELj62ELj31ELj100EEvPKT0_PS4_S4_
	.p2align	8
	.type	_Z6kernelI14inclusive_scanN15benchmark_utils11custom_typeIidEELj62ELj31ELj100EEvPKT0_PS4_S4_,@function
_Z6kernelI14inclusive_scanN15benchmark_utils11custom_typeIidEELj62ELj31ELj100EEvPKT0_PS4_S4_: ; @_Z6kernelI14inclusive_scanN15benchmark_utils11custom_typeIidEELj62ELj31ELj100EEvPKT0_PS4_S4_
; %bb.0:
	s_load_dword s0, s[4:5], 0x2c
	s_load_dwordx4 s[8:11], s[4:5], 0x0
	v_mov_b32_e32 v1, 0
	s_movk_i32 s12, 0x64
	s_waitcnt lgkmcnt(0)
	s_and_b32 s0, s0, 0xffff
	s_mul_i32 s6, s6, s0
	v_add_u32_e32 v0, s6, v0
	v_lshlrev_b64 v[0:1], 4, v[0:1]
	v_mov_b32_e32 v2, s9
	v_add_co_u32_e32 v5, vcc, s8, v0
	v_addc_co_u32_e32 v6, vcc, v2, v1, vcc
	global_load_dword v4, v[5:6], off
	global_load_dwordx2 v[2:3], v[5:6], off offset:8
	v_mbcnt_lo_u32_b32 v5, -1, 0
	v_mbcnt_hi_u32_b32 v5, -1, v5
	s_mov_b32 s0, 0x8421085
	v_mul_hi_u32 v6, v5, s0
	v_mul_u32_u24_e32 v6, 31, v6
	v_sub_u32_e32 v6, v5, v6
	v_lshlrev_b32_e32 v5, 4, v6
	v_cmp_ne_u32_e32 vcc, 0, v6
	v_cmp_lt_u32_e64 s[0:1], 1, v6
	v_cmp_lt_u32_e64 s[2:3], 3, v6
	v_cmp_lt_u32_e64 s[4:5], 7, v6
	v_cmp_lt_u32_e64 s[6:7], 15, v6
	v_add_u32_e32 v6, -8, v5
	v_add_u32_e32 v7, -16, v5
	v_subrev_u32_e32 v8, 24, v5
	v_subrev_u32_e32 v9, 32, v5
	;; [unrolled: 1-line block ×4, first 2 shown]
	v_add_u32_e32 v12, 0xffffff88, v5
	v_add_u32_e32 v13, 0xffffff80, v5
	;; [unrolled: 1-line block ×4, first 2 shown]
	s_branch .LBB42_2
.LBB42_1:                               ;   in Loop: Header=BB42_2 Depth=1
	s_or_b64 exec, exec, s[8:9]
	s_add_i32 s12, s12, -1
	s_cmp_lg_u32 s12, 0
	; wave barrier
	s_cbranch_scc0 .LBB42_22
.LBB42_2:                               ; =>This Inner Loop Header: Depth=1
	s_waitcnt vmcnt(1)
	ds_write_b32 v5, v4
	s_waitcnt vmcnt(0)
	ds_write_b64 v5, v[2:3] offset:8
	; wave barrier
	s_and_saveexec_b64 s[8:9], vcc
	s_cbranch_execz .LBB42_4
; %bb.3:                                ;   in Loop: Header=BB42_2 Depth=1
	ds_read_b64 v[16:17], v6
	s_waitcnt lgkmcnt(0)
	v_add_f64 v[2:3], v[2:3], v[16:17]
	ds_read_b32 v16, v7
	s_waitcnt lgkmcnt(0)
	v_add_u32_e32 v4, v16, v4
.LBB42_4:                               ;   in Loop: Header=BB42_2 Depth=1
	s_or_b64 exec, exec, s[8:9]
	; wave barrier
	s_and_saveexec_b64 s[8:9], vcc
	s_cbranch_execz .LBB42_6
; %bb.5:                                ;   in Loop: Header=BB42_2 Depth=1
	ds_write_b32 v5, v4
	ds_write_b64 v5, v[2:3] offset:8
.LBB42_6:                               ;   in Loop: Header=BB42_2 Depth=1
	s_or_b64 exec, exec, s[8:9]
	; wave barrier
	s_and_saveexec_b64 s[8:9], s[0:1]
	s_cbranch_execz .LBB42_8
; %bb.7:                                ;   in Loop: Header=BB42_2 Depth=1
	ds_read_b64 v[16:17], v8
	s_waitcnt lgkmcnt(0)
	v_add_f64 v[2:3], v[2:3], v[16:17]
	ds_read_b32 v16, v9
	s_waitcnt lgkmcnt(0)
	v_add_u32_e32 v4, v16, v4
.LBB42_8:                               ;   in Loop: Header=BB42_2 Depth=1
	s_or_b64 exec, exec, s[8:9]
	; wave barrier
	s_and_saveexec_b64 s[8:9], s[0:1]
	s_cbranch_execz .LBB42_10
; %bb.9:                                ;   in Loop: Header=BB42_2 Depth=1
	ds_write_b32 v5, v4
	ds_write_b64 v5, v[2:3] offset:8
.LBB42_10:                              ;   in Loop: Header=BB42_2 Depth=1
	s_or_b64 exec, exec, s[8:9]
	; wave barrier
	s_and_saveexec_b64 s[8:9], s[2:3]
	s_cbranch_execz .LBB42_12
; %bb.11:                               ;   in Loop: Header=BB42_2 Depth=1
	ds_read_b64 v[16:17], v10
	s_waitcnt lgkmcnt(0)
	v_add_f64 v[2:3], v[2:3], v[16:17]
	ds_read_b32 v16, v11
	s_waitcnt lgkmcnt(0)
	v_add_u32_e32 v4, v16, v4
.LBB42_12:                              ;   in Loop: Header=BB42_2 Depth=1
	s_or_b64 exec, exec, s[8:9]
	; wave barrier
	s_and_saveexec_b64 s[8:9], s[2:3]
	s_cbranch_execz .LBB42_14
; %bb.13:                               ;   in Loop: Header=BB42_2 Depth=1
	ds_write_b32 v5, v4
	ds_write_b64 v5, v[2:3] offset:8
.LBB42_14:                              ;   in Loop: Header=BB42_2 Depth=1
	s_or_b64 exec, exec, s[8:9]
	; wave barrier
	s_and_saveexec_b64 s[8:9], s[4:5]
	s_cbranch_execz .LBB42_16
; %bb.15:                               ;   in Loop: Header=BB42_2 Depth=1
	ds_read_b64 v[16:17], v12
	s_waitcnt lgkmcnt(0)
	v_add_f64 v[2:3], v[2:3], v[16:17]
	ds_read_b32 v16, v13
	s_waitcnt lgkmcnt(0)
	v_add_u32_e32 v4, v16, v4
.LBB42_16:                              ;   in Loop: Header=BB42_2 Depth=1
	s_or_b64 exec, exec, s[8:9]
	; wave barrier
	s_and_saveexec_b64 s[8:9], s[4:5]
	s_cbranch_execz .LBB42_18
; %bb.17:                               ;   in Loop: Header=BB42_2 Depth=1
	ds_write_b32 v5, v4
	ds_write_b64 v5, v[2:3] offset:8
.LBB42_18:                              ;   in Loop: Header=BB42_2 Depth=1
	s_or_b64 exec, exec, s[8:9]
	; wave barrier
	s_and_saveexec_b64 s[8:9], s[6:7]
	s_cbranch_execz .LBB42_20
; %bb.19:                               ;   in Loop: Header=BB42_2 Depth=1
	ds_read_b64 v[16:17], v14
	s_waitcnt lgkmcnt(0)
	v_add_f64 v[2:3], v[2:3], v[16:17]
	ds_read_b32 v16, v15
	s_waitcnt lgkmcnt(0)
	v_add_u32_e32 v4, v16, v4
.LBB42_20:                              ;   in Loop: Header=BB42_2 Depth=1
	s_or_b64 exec, exec, s[8:9]
	; wave barrier
	s_and_saveexec_b64 s[8:9], s[6:7]
	s_cbranch_execz .LBB42_1
; %bb.21:                               ;   in Loop: Header=BB42_2 Depth=1
	ds_write_b32 v5, v4
	ds_write_b64 v5, v[2:3] offset:8
	s_branch .LBB42_1
.LBB42_22:
	v_mov_b32_e32 v5, s11
	v_add_co_u32_e32 v0, vcc, s10, v0
	v_addc_co_u32_e32 v1, vcc, v5, v1, vcc
	global_store_dword v[0:1], v4, off
	global_store_dwordx2 v[0:1], v[2:3], off offset:8
	s_endpgm
	.section	.rodata,"a",@progbits
	.p2align	6, 0x0
	.amdhsa_kernel _Z6kernelI14inclusive_scanN15benchmark_utils11custom_typeIidEELj62ELj31ELj100EEvPKT0_PS4_S4_
		.amdhsa_group_segment_fixed_size 496
		.amdhsa_private_segment_fixed_size 0
		.amdhsa_kernarg_size 288
		.amdhsa_user_sgpr_count 6
		.amdhsa_user_sgpr_private_segment_buffer 1
		.amdhsa_user_sgpr_dispatch_ptr 0
		.amdhsa_user_sgpr_queue_ptr 0
		.amdhsa_user_sgpr_kernarg_segment_ptr 1
		.amdhsa_user_sgpr_dispatch_id 0
		.amdhsa_user_sgpr_flat_scratch_init 0
		.amdhsa_user_sgpr_private_segment_size 0
		.amdhsa_uses_dynamic_stack 0
		.amdhsa_system_sgpr_private_segment_wavefront_offset 0
		.amdhsa_system_sgpr_workgroup_id_x 1
		.amdhsa_system_sgpr_workgroup_id_y 0
		.amdhsa_system_sgpr_workgroup_id_z 0
		.amdhsa_system_sgpr_workgroup_info 0
		.amdhsa_system_vgpr_workitem_id 0
		.amdhsa_next_free_vgpr 18
		.amdhsa_next_free_sgpr 13
		.amdhsa_reserve_vcc 1
		.amdhsa_reserve_flat_scratch 0
		.amdhsa_float_round_mode_32 0
		.amdhsa_float_round_mode_16_64 0
		.amdhsa_float_denorm_mode_32 3
		.amdhsa_float_denorm_mode_16_64 3
		.amdhsa_dx10_clamp 1
		.amdhsa_ieee_mode 1
		.amdhsa_fp16_overflow 0
		.amdhsa_exception_fp_ieee_invalid_op 0
		.amdhsa_exception_fp_denorm_src 0
		.amdhsa_exception_fp_ieee_div_zero 0
		.amdhsa_exception_fp_ieee_overflow 0
		.amdhsa_exception_fp_ieee_underflow 0
		.amdhsa_exception_fp_ieee_inexact 0
		.amdhsa_exception_int_div_zero 0
	.end_amdhsa_kernel
	.section	.text._Z6kernelI14inclusive_scanN15benchmark_utils11custom_typeIidEELj62ELj31ELj100EEvPKT0_PS4_S4_,"axG",@progbits,_Z6kernelI14inclusive_scanN15benchmark_utils11custom_typeIidEELj62ELj31ELj100EEvPKT0_PS4_S4_,comdat
.Lfunc_end42:
	.size	_Z6kernelI14inclusive_scanN15benchmark_utils11custom_typeIidEELj62ELj31ELj100EEvPKT0_PS4_S4_, .Lfunc_end42-_Z6kernelI14inclusive_scanN15benchmark_utils11custom_typeIidEELj62ELj31ELj100EEvPKT0_PS4_S4_
                                        ; -- End function
	.set _Z6kernelI14inclusive_scanN15benchmark_utils11custom_typeIidEELj62ELj31ELj100EEvPKT0_PS4_S4_.num_vgpr, 18
	.set _Z6kernelI14inclusive_scanN15benchmark_utils11custom_typeIidEELj62ELj31ELj100EEvPKT0_PS4_S4_.num_agpr, 0
	.set _Z6kernelI14inclusive_scanN15benchmark_utils11custom_typeIidEELj62ELj31ELj100EEvPKT0_PS4_S4_.numbered_sgpr, 13
	.set _Z6kernelI14inclusive_scanN15benchmark_utils11custom_typeIidEELj62ELj31ELj100EEvPKT0_PS4_S4_.num_named_barrier, 0
	.set _Z6kernelI14inclusive_scanN15benchmark_utils11custom_typeIidEELj62ELj31ELj100EEvPKT0_PS4_S4_.private_seg_size, 0
	.set _Z6kernelI14inclusive_scanN15benchmark_utils11custom_typeIidEELj62ELj31ELj100EEvPKT0_PS4_S4_.uses_vcc, 1
	.set _Z6kernelI14inclusive_scanN15benchmark_utils11custom_typeIidEELj62ELj31ELj100EEvPKT0_PS4_S4_.uses_flat_scratch, 0
	.set _Z6kernelI14inclusive_scanN15benchmark_utils11custom_typeIidEELj62ELj31ELj100EEvPKT0_PS4_S4_.has_dyn_sized_stack, 0
	.set _Z6kernelI14inclusive_scanN15benchmark_utils11custom_typeIidEELj62ELj31ELj100EEvPKT0_PS4_S4_.has_recursion, 0
	.set _Z6kernelI14inclusive_scanN15benchmark_utils11custom_typeIidEELj62ELj31ELj100EEvPKT0_PS4_S4_.has_indirect_call, 0
	.section	.AMDGPU.csdata,"",@progbits
; Kernel info:
; codeLenInByte = 672
; TotalNumSgprs: 17
; NumVgprs: 18
; ScratchSize: 0
; MemoryBound: 0
; FloatMode: 240
; IeeeMode: 1
; LDSByteSize: 496 bytes/workgroup (compile time only)
; SGPRBlocks: 2
; VGPRBlocks: 4
; NumSGPRsForWavesPerEU: 17
; NumVGPRsForWavesPerEU: 18
; Occupancy: 10
; WaveLimiterHint : 0
; COMPUTE_PGM_RSRC2:SCRATCH_EN: 0
; COMPUTE_PGM_RSRC2:USER_SGPR: 6
; COMPUTE_PGM_RSRC2:TRAP_HANDLER: 0
; COMPUTE_PGM_RSRC2:TGID_X_EN: 1
; COMPUTE_PGM_RSRC2:TGID_Y_EN: 0
; COMPUTE_PGM_RSRC2:TGID_Z_EN: 0
; COMPUTE_PGM_RSRC2:TIDIG_COMP_CNT: 0
	.section	.text._Z6kernelI14inclusive_scanN15benchmark_utils11custom_typeIidEELj256ELj32ELj100EEvPKT0_PS4_S4_,"axG",@progbits,_Z6kernelI14inclusive_scanN15benchmark_utils11custom_typeIidEELj256ELj32ELj100EEvPKT0_PS4_S4_,comdat
	.protected	_Z6kernelI14inclusive_scanN15benchmark_utils11custom_typeIidEELj256ELj32ELj100EEvPKT0_PS4_S4_ ; -- Begin function _Z6kernelI14inclusive_scanN15benchmark_utils11custom_typeIidEELj256ELj32ELj100EEvPKT0_PS4_S4_
	.globl	_Z6kernelI14inclusive_scanN15benchmark_utils11custom_typeIidEELj256ELj32ELj100EEvPKT0_PS4_S4_
	.p2align	8
	.type	_Z6kernelI14inclusive_scanN15benchmark_utils11custom_typeIidEELj256ELj32ELj100EEvPKT0_PS4_S4_,@function
_Z6kernelI14inclusive_scanN15benchmark_utils11custom_typeIidEELj256ELj32ELj100EEvPKT0_PS4_S4_: ; @_Z6kernelI14inclusive_scanN15benchmark_utils11custom_typeIidEELj256ELj32ELj100EEvPKT0_PS4_S4_
; %bb.0:
	s_load_dword s0, s[4:5], 0x2c
	s_load_dwordx4 s[8:11], s[4:5], 0x0
	v_mov_b32_e32 v1, 0
	s_movk_i32 s12, 0x64
	s_waitcnt lgkmcnt(0)
	s_and_b32 s0, s0, 0xffff
	s_mul_i32 s6, s6, s0
	v_add_u32_e32 v0, s6, v0
	v_lshlrev_b64 v[0:1], 4, v[0:1]
	v_mov_b32_e32 v2, s9
	v_add_co_u32_e32 v4, vcc, s8, v0
	v_addc_co_u32_e32 v5, vcc, v2, v1, vcc
	global_load_dword v6, v[4:5], off
	global_load_dwordx2 v[2:3], v[4:5], off offset:8
	v_mbcnt_lo_u32_b32 v4, -1, 0
	v_mbcnt_hi_u32_b32 v4, -1, v4
	v_and_b32_e32 v5, 15, v4
	v_and_b32_e32 v4, 16, v4
	v_cmp_ne_u32_e32 vcc, 0, v5
	v_cmp_lt_u32_e64 s[0:1], 1, v5
	v_cmp_lt_u32_e64 s[2:3], 3, v5
	v_cmp_lt_u32_e64 s[4:5], 7, v5
	v_cmp_ne_u32_e64 s[6:7], 0, v4
	s_branch .LBB43_2
.LBB43_1:                               ;   in Loop: Header=BB43_2 Depth=1
	s_or_b64 exec, exec, s[8:9]
	s_add_i32 s12, s12, -1
	s_cmp_lg_u32 s12, 0
	s_cbranch_scc0 .LBB43_12
.LBB43_2:                               ; =>This Inner Loop Header: Depth=1
	s_waitcnt vmcnt(1)
	v_mov_b32_dpp v7, v6 row_shr:1 row_mask:0xf bank_mask:0xf
	s_waitcnt vmcnt(0)
	v_mov_b32_dpp v4, v2 row_shr:1 row_mask:0xf bank_mask:0xf
	v_mov_b32_dpp v5, v3 row_shr:1 row_mask:0xf bank_mask:0xf
	s_and_saveexec_b64 s[8:9], vcc
; %bb.3:                                ;   in Loop: Header=BB43_2 Depth=1
	v_add_f64 v[2:3], v[2:3], v[4:5]
	v_add_u32_e32 v6, v7, v6
; %bb.4:                                ;   in Loop: Header=BB43_2 Depth=1
	s_or_b64 exec, exec, s[8:9]
	s_nop 0
	v_mov_b32_dpp v7, v6 row_shr:2 row_mask:0xf bank_mask:0xf
	v_mov_b32_dpp v4, v2 row_shr:2 row_mask:0xf bank_mask:0xf
	v_mov_b32_dpp v5, v3 row_shr:2 row_mask:0xf bank_mask:0xf
	s_and_saveexec_b64 s[8:9], s[0:1]
; %bb.5:                                ;   in Loop: Header=BB43_2 Depth=1
	v_add_f64 v[2:3], v[2:3], v[4:5]
	v_add_u32_e32 v6, v7, v6
; %bb.6:                                ;   in Loop: Header=BB43_2 Depth=1
	s_or_b64 exec, exec, s[8:9]
	s_nop 0
	v_mov_b32_dpp v7, v6 row_shr:4 row_mask:0xf bank_mask:0xf
	v_mov_b32_dpp v4, v2 row_shr:4 row_mask:0xf bank_mask:0xf
	v_mov_b32_dpp v5, v3 row_shr:4 row_mask:0xf bank_mask:0xf
	s_and_saveexec_b64 s[8:9], s[2:3]
	;; [unrolled: 10-line block ×3, first 2 shown]
; %bb.9:                                ;   in Loop: Header=BB43_2 Depth=1
	v_add_f64 v[2:3], v[2:3], v[4:5]
	v_add_u32_e32 v6, v7, v6
; %bb.10:                               ;   in Loop: Header=BB43_2 Depth=1
	s_or_b64 exec, exec, s[8:9]
	s_nop 0
	v_mov_b32_dpp v7, v6 row_bcast:15 row_mask:0xf bank_mask:0xf
	v_mov_b32_dpp v4, v2 row_bcast:15 row_mask:0xf bank_mask:0xf
	;; [unrolled: 1-line block ×3, first 2 shown]
	s_and_saveexec_b64 s[8:9], s[6:7]
	s_cbranch_execz .LBB43_1
; %bb.11:                               ;   in Loop: Header=BB43_2 Depth=1
	v_add_f64 v[2:3], v[2:3], v[4:5]
	v_add_u32_e32 v6, v7, v6
	s_branch .LBB43_1
.LBB43_12:
	v_mov_b32_e32 v4, s11
	v_add_co_u32_e32 v0, vcc, s10, v0
	v_addc_co_u32_e32 v1, vcc, v4, v1, vcc
	global_store_dword v[0:1], v6, off
	global_store_dwordx2 v[0:1], v[2:3], off offset:8
	s_endpgm
	.section	.rodata,"a",@progbits
	.p2align	6, 0x0
	.amdhsa_kernel _Z6kernelI14inclusive_scanN15benchmark_utils11custom_typeIidEELj256ELj32ELj100EEvPKT0_PS4_S4_
		.amdhsa_group_segment_fixed_size 0
		.amdhsa_private_segment_fixed_size 0
		.amdhsa_kernarg_size 288
		.amdhsa_user_sgpr_count 6
		.amdhsa_user_sgpr_private_segment_buffer 1
		.amdhsa_user_sgpr_dispatch_ptr 0
		.amdhsa_user_sgpr_queue_ptr 0
		.amdhsa_user_sgpr_kernarg_segment_ptr 1
		.amdhsa_user_sgpr_dispatch_id 0
		.amdhsa_user_sgpr_flat_scratch_init 0
		.amdhsa_user_sgpr_private_segment_size 0
		.amdhsa_uses_dynamic_stack 0
		.amdhsa_system_sgpr_private_segment_wavefront_offset 0
		.amdhsa_system_sgpr_workgroup_id_x 1
		.amdhsa_system_sgpr_workgroup_id_y 0
		.amdhsa_system_sgpr_workgroup_id_z 0
		.amdhsa_system_sgpr_workgroup_info 0
		.amdhsa_system_vgpr_workitem_id 0
		.amdhsa_next_free_vgpr 8
		.amdhsa_next_free_sgpr 13
		.amdhsa_reserve_vcc 1
		.amdhsa_reserve_flat_scratch 0
		.amdhsa_float_round_mode_32 0
		.amdhsa_float_round_mode_16_64 0
		.amdhsa_float_denorm_mode_32 3
		.amdhsa_float_denorm_mode_16_64 3
		.amdhsa_dx10_clamp 1
		.amdhsa_ieee_mode 1
		.amdhsa_fp16_overflow 0
		.amdhsa_exception_fp_ieee_invalid_op 0
		.amdhsa_exception_fp_denorm_src 0
		.amdhsa_exception_fp_ieee_div_zero 0
		.amdhsa_exception_fp_ieee_overflow 0
		.amdhsa_exception_fp_ieee_underflow 0
		.amdhsa_exception_fp_ieee_inexact 0
		.amdhsa_exception_int_div_zero 0
	.end_amdhsa_kernel
	.section	.text._Z6kernelI14inclusive_scanN15benchmark_utils11custom_typeIidEELj256ELj32ELj100EEvPKT0_PS4_S4_,"axG",@progbits,_Z6kernelI14inclusive_scanN15benchmark_utils11custom_typeIidEELj256ELj32ELj100EEvPKT0_PS4_S4_,comdat
.Lfunc_end43:
	.size	_Z6kernelI14inclusive_scanN15benchmark_utils11custom_typeIidEELj256ELj32ELj100EEvPKT0_PS4_S4_, .Lfunc_end43-_Z6kernelI14inclusive_scanN15benchmark_utils11custom_typeIidEELj256ELj32ELj100EEvPKT0_PS4_S4_
                                        ; -- End function
	.set _Z6kernelI14inclusive_scanN15benchmark_utils11custom_typeIidEELj256ELj32ELj100EEvPKT0_PS4_S4_.num_vgpr, 8
	.set _Z6kernelI14inclusive_scanN15benchmark_utils11custom_typeIidEELj256ELj32ELj100EEvPKT0_PS4_S4_.num_agpr, 0
	.set _Z6kernelI14inclusive_scanN15benchmark_utils11custom_typeIidEELj256ELj32ELj100EEvPKT0_PS4_S4_.numbered_sgpr, 13
	.set _Z6kernelI14inclusive_scanN15benchmark_utils11custom_typeIidEELj256ELj32ELj100EEvPKT0_PS4_S4_.num_named_barrier, 0
	.set _Z6kernelI14inclusive_scanN15benchmark_utils11custom_typeIidEELj256ELj32ELj100EEvPKT0_PS4_S4_.private_seg_size, 0
	.set _Z6kernelI14inclusive_scanN15benchmark_utils11custom_typeIidEELj256ELj32ELj100EEvPKT0_PS4_S4_.uses_vcc, 1
	.set _Z6kernelI14inclusive_scanN15benchmark_utils11custom_typeIidEELj256ELj32ELj100EEvPKT0_PS4_S4_.uses_flat_scratch, 0
	.set _Z6kernelI14inclusive_scanN15benchmark_utils11custom_typeIidEELj256ELj32ELj100EEvPKT0_PS4_S4_.has_dyn_sized_stack, 0
	.set _Z6kernelI14inclusive_scanN15benchmark_utils11custom_typeIidEELj256ELj32ELj100EEvPKT0_PS4_S4_.has_recursion, 0
	.set _Z6kernelI14inclusive_scanN15benchmark_utils11custom_typeIidEELj256ELj32ELj100EEvPKT0_PS4_S4_.has_indirect_call, 0
	.section	.AMDGPU.csdata,"",@progbits
; Kernel info:
; codeLenInByte = 440
; TotalNumSgprs: 17
; NumVgprs: 8
; ScratchSize: 0
; MemoryBound: 0
; FloatMode: 240
; IeeeMode: 1
; LDSByteSize: 0 bytes/workgroup (compile time only)
; SGPRBlocks: 2
; VGPRBlocks: 1
; NumSGPRsForWavesPerEU: 17
; NumVGPRsForWavesPerEU: 8
; Occupancy: 10
; WaveLimiterHint : 0
; COMPUTE_PGM_RSRC2:SCRATCH_EN: 0
; COMPUTE_PGM_RSRC2:USER_SGPR: 6
; COMPUTE_PGM_RSRC2:TRAP_HANDLER: 0
; COMPUTE_PGM_RSRC2:TGID_X_EN: 1
; COMPUTE_PGM_RSRC2:TGID_Y_EN: 0
; COMPUTE_PGM_RSRC2:TGID_Z_EN: 0
; COMPUTE_PGM_RSRC2:TIDIG_COMP_CNT: 0
	.section	.text._Z6kernelI14inclusive_scanN15benchmark_utils11custom_typeIidEELj63ELj63ELj100EEvPKT0_PS4_S4_,"axG",@progbits,_Z6kernelI14inclusive_scanN15benchmark_utils11custom_typeIidEELj63ELj63ELj100EEvPKT0_PS4_S4_,comdat
	.protected	_Z6kernelI14inclusive_scanN15benchmark_utils11custom_typeIidEELj63ELj63ELj100EEvPKT0_PS4_S4_ ; -- Begin function _Z6kernelI14inclusive_scanN15benchmark_utils11custom_typeIidEELj63ELj63ELj100EEvPKT0_PS4_S4_
	.globl	_Z6kernelI14inclusive_scanN15benchmark_utils11custom_typeIidEELj63ELj63ELj100EEvPKT0_PS4_S4_
	.p2align	8
	.type	_Z6kernelI14inclusive_scanN15benchmark_utils11custom_typeIidEELj63ELj63ELj100EEvPKT0_PS4_S4_,@function
_Z6kernelI14inclusive_scanN15benchmark_utils11custom_typeIidEELj63ELj63ELj100EEvPKT0_PS4_S4_: ; @_Z6kernelI14inclusive_scanN15benchmark_utils11custom_typeIidEELj63ELj63ELj100EEvPKT0_PS4_S4_
; %bb.0:
	s_load_dword s0, s[4:5], 0x2c
	s_load_dwordx4 s[8:11], s[4:5], 0x0
	v_mov_b32_e32 v1, 0
	s_movk_i32 s14, 0x64
	s_waitcnt lgkmcnt(0)
	s_and_b32 s0, s0, 0xffff
	s_mul_i32 s6, s6, s0
	v_add_u32_e32 v0, s6, v0
	v_lshlrev_b64 v[0:1], 4, v[0:1]
	v_mov_b32_e32 v2, s9
	v_add_co_u32_e32 v5, vcc, s8, v0
	v_addc_co_u32_e32 v6, vcc, v2, v1, vcc
	global_load_dword v4, v[5:6], off
	global_load_dwordx2 v[2:3], v[5:6], off offset:8
	v_mbcnt_lo_u32_b32 v5, -1, 0
	v_mbcnt_hi_u32_b32 v5, -1, v5
	s_mov_b32 s0, 0x4104105
	v_mul_hi_u32 v6, v5, s0
	v_mul_u32_u24_e32 v6, 63, v6
	v_sub_u32_e32 v6, v5, v6
	v_lshlrev_b32_e32 v5, 4, v6
	v_cmp_ne_u32_e32 vcc, 0, v6
	v_cmp_lt_u32_e64 s[0:1], 1, v6
	v_cmp_lt_u32_e64 s[2:3], 3, v6
	;; [unrolled: 1-line block ×5, first 2 shown]
	v_add_u32_e32 v6, -8, v5
	v_add_u32_e32 v7, -16, v5
	v_subrev_u32_e32 v8, 24, v5
	v_subrev_u32_e32 v9, 32, v5
	;; [unrolled: 1-line block ×4, first 2 shown]
	v_add_u32_e32 v12, 0xffffff88, v5
	v_add_u32_e32 v13, 0xffffff80, v5
	;; [unrolled: 1-line block ×6, first 2 shown]
	s_branch .LBB44_2
.LBB44_1:                               ;   in Loop: Header=BB44_2 Depth=1
	s_or_b64 exec, exec, s[12:13]
	s_add_i32 s14, s14, -1
	s_cmp_lg_u32 s14, 0
	; wave barrier
	s_cbranch_scc0 .LBB44_26
.LBB44_2:                               ; =>This Inner Loop Header: Depth=1
	s_waitcnt vmcnt(1)
	ds_write_b32 v5, v4
	s_waitcnt vmcnt(0)
	ds_write_b64 v5, v[2:3] offset:8
	; wave barrier
	s_and_saveexec_b64 s[12:13], vcc
	s_cbranch_execz .LBB44_4
; %bb.3:                                ;   in Loop: Header=BB44_2 Depth=1
	ds_read_b64 v[18:19], v6
	s_waitcnt lgkmcnt(0)
	v_add_f64 v[2:3], v[2:3], v[18:19]
	ds_read_b32 v18, v7
	s_waitcnt lgkmcnt(0)
	v_add_u32_e32 v4, v18, v4
.LBB44_4:                               ;   in Loop: Header=BB44_2 Depth=1
	s_or_b64 exec, exec, s[12:13]
	; wave barrier
	s_and_saveexec_b64 s[12:13], vcc
	s_cbranch_execz .LBB44_6
; %bb.5:                                ;   in Loop: Header=BB44_2 Depth=1
	ds_write_b32 v5, v4
	ds_write_b64 v5, v[2:3] offset:8
.LBB44_6:                               ;   in Loop: Header=BB44_2 Depth=1
	s_or_b64 exec, exec, s[12:13]
	; wave barrier
	s_and_saveexec_b64 s[12:13], s[0:1]
	s_cbranch_execz .LBB44_8
; %bb.7:                                ;   in Loop: Header=BB44_2 Depth=1
	ds_read_b64 v[18:19], v8
	s_waitcnt lgkmcnt(0)
	v_add_f64 v[2:3], v[2:3], v[18:19]
	ds_read_b32 v18, v9
	s_waitcnt lgkmcnt(0)
	v_add_u32_e32 v4, v18, v4
.LBB44_8:                               ;   in Loop: Header=BB44_2 Depth=1
	s_or_b64 exec, exec, s[12:13]
	; wave barrier
	s_and_saveexec_b64 s[12:13], s[0:1]
	s_cbranch_execz .LBB44_10
; %bb.9:                                ;   in Loop: Header=BB44_2 Depth=1
	ds_write_b32 v5, v4
	ds_write_b64 v5, v[2:3] offset:8
.LBB44_10:                              ;   in Loop: Header=BB44_2 Depth=1
	s_or_b64 exec, exec, s[12:13]
	; wave barrier
	s_and_saveexec_b64 s[12:13], s[2:3]
	s_cbranch_execz .LBB44_12
; %bb.11:                               ;   in Loop: Header=BB44_2 Depth=1
	ds_read_b64 v[18:19], v10
	s_waitcnt lgkmcnt(0)
	v_add_f64 v[2:3], v[2:3], v[18:19]
	ds_read_b32 v18, v11
	s_waitcnt lgkmcnt(0)
	v_add_u32_e32 v4, v18, v4
.LBB44_12:                              ;   in Loop: Header=BB44_2 Depth=1
	s_or_b64 exec, exec, s[12:13]
	; wave barrier
	s_and_saveexec_b64 s[12:13], s[2:3]
	s_cbranch_execz .LBB44_14
; %bb.13:                               ;   in Loop: Header=BB44_2 Depth=1
	ds_write_b32 v5, v4
	ds_write_b64 v5, v[2:3] offset:8
.LBB44_14:                              ;   in Loop: Header=BB44_2 Depth=1
	s_or_b64 exec, exec, s[12:13]
	; wave barrier
	s_and_saveexec_b64 s[12:13], s[4:5]
	s_cbranch_execz .LBB44_16
; %bb.15:                               ;   in Loop: Header=BB44_2 Depth=1
	ds_read_b64 v[18:19], v12
	s_waitcnt lgkmcnt(0)
	v_add_f64 v[2:3], v[2:3], v[18:19]
	ds_read_b32 v18, v13
	s_waitcnt lgkmcnt(0)
	v_add_u32_e32 v4, v18, v4
.LBB44_16:                              ;   in Loop: Header=BB44_2 Depth=1
	s_or_b64 exec, exec, s[12:13]
	; wave barrier
	s_and_saveexec_b64 s[12:13], s[4:5]
	s_cbranch_execz .LBB44_18
; %bb.17:                               ;   in Loop: Header=BB44_2 Depth=1
	ds_write_b32 v5, v4
	ds_write_b64 v5, v[2:3] offset:8
.LBB44_18:                              ;   in Loop: Header=BB44_2 Depth=1
	;; [unrolled: 20-line block ×3, first 2 shown]
	s_or_b64 exec, exec, s[12:13]
	; wave barrier
	s_and_saveexec_b64 s[12:13], s[8:9]
	s_cbranch_execz .LBB44_24
; %bb.23:                               ;   in Loop: Header=BB44_2 Depth=1
	ds_read_b64 v[18:19], v16
	s_waitcnt lgkmcnt(0)
	v_add_f64 v[2:3], v[2:3], v[18:19]
	ds_read_b32 v18, v17
	s_waitcnt lgkmcnt(0)
	v_add_u32_e32 v4, v18, v4
.LBB44_24:                              ;   in Loop: Header=BB44_2 Depth=1
	s_or_b64 exec, exec, s[12:13]
	; wave barrier
	s_and_saveexec_b64 s[12:13], s[8:9]
	s_cbranch_execz .LBB44_1
; %bb.25:                               ;   in Loop: Header=BB44_2 Depth=1
	ds_write_b32 v5, v4
	ds_write_b64 v5, v[2:3] offset:8
	s_branch .LBB44_1
.LBB44_26:
	v_mov_b32_e32 v5, s11
	v_add_co_u32_e32 v0, vcc, s10, v0
	v_addc_co_u32_e32 v1, vcc, v5, v1, vcc
	global_store_dword v[0:1], v4, off
	global_store_dwordx2 v[0:1], v[2:3], off offset:8
	s_endpgm
	.section	.rodata,"a",@progbits
	.p2align	6, 0x0
	.amdhsa_kernel _Z6kernelI14inclusive_scanN15benchmark_utils11custom_typeIidEELj63ELj63ELj100EEvPKT0_PS4_S4_
		.amdhsa_group_segment_fixed_size 1008
		.amdhsa_private_segment_fixed_size 0
		.amdhsa_kernarg_size 288
		.amdhsa_user_sgpr_count 6
		.amdhsa_user_sgpr_private_segment_buffer 1
		.amdhsa_user_sgpr_dispatch_ptr 0
		.amdhsa_user_sgpr_queue_ptr 0
		.amdhsa_user_sgpr_kernarg_segment_ptr 1
		.amdhsa_user_sgpr_dispatch_id 0
		.amdhsa_user_sgpr_flat_scratch_init 0
		.amdhsa_user_sgpr_private_segment_size 0
		.amdhsa_uses_dynamic_stack 0
		.amdhsa_system_sgpr_private_segment_wavefront_offset 0
		.amdhsa_system_sgpr_workgroup_id_x 1
		.amdhsa_system_sgpr_workgroup_id_y 0
		.amdhsa_system_sgpr_workgroup_id_z 0
		.amdhsa_system_sgpr_workgroup_info 0
		.amdhsa_system_vgpr_workitem_id 0
		.amdhsa_next_free_vgpr 20
		.amdhsa_next_free_sgpr 15
		.amdhsa_reserve_vcc 1
		.amdhsa_reserve_flat_scratch 0
		.amdhsa_float_round_mode_32 0
		.amdhsa_float_round_mode_16_64 0
		.amdhsa_float_denorm_mode_32 3
		.amdhsa_float_denorm_mode_16_64 3
		.amdhsa_dx10_clamp 1
		.amdhsa_ieee_mode 1
		.amdhsa_fp16_overflow 0
		.amdhsa_exception_fp_ieee_invalid_op 0
		.amdhsa_exception_fp_denorm_src 0
		.amdhsa_exception_fp_ieee_div_zero 0
		.amdhsa_exception_fp_ieee_overflow 0
		.amdhsa_exception_fp_ieee_underflow 0
		.amdhsa_exception_fp_ieee_inexact 0
		.amdhsa_exception_int_div_zero 0
	.end_amdhsa_kernel
	.section	.text._Z6kernelI14inclusive_scanN15benchmark_utils11custom_typeIidEELj63ELj63ELj100EEvPKT0_PS4_S4_,"axG",@progbits,_Z6kernelI14inclusive_scanN15benchmark_utils11custom_typeIidEELj63ELj63ELj100EEvPKT0_PS4_S4_,comdat
.Lfunc_end44:
	.size	_Z6kernelI14inclusive_scanN15benchmark_utils11custom_typeIidEELj63ELj63ELj100EEvPKT0_PS4_S4_, .Lfunc_end44-_Z6kernelI14inclusive_scanN15benchmark_utils11custom_typeIidEELj63ELj63ELj100EEvPKT0_PS4_S4_
                                        ; -- End function
	.set _Z6kernelI14inclusive_scanN15benchmark_utils11custom_typeIidEELj63ELj63ELj100EEvPKT0_PS4_S4_.num_vgpr, 20
	.set _Z6kernelI14inclusive_scanN15benchmark_utils11custom_typeIidEELj63ELj63ELj100EEvPKT0_PS4_S4_.num_agpr, 0
	.set _Z6kernelI14inclusive_scanN15benchmark_utils11custom_typeIidEELj63ELj63ELj100EEvPKT0_PS4_S4_.numbered_sgpr, 15
	.set _Z6kernelI14inclusive_scanN15benchmark_utils11custom_typeIidEELj63ELj63ELj100EEvPKT0_PS4_S4_.num_named_barrier, 0
	.set _Z6kernelI14inclusive_scanN15benchmark_utils11custom_typeIidEELj63ELj63ELj100EEvPKT0_PS4_S4_.private_seg_size, 0
	.set _Z6kernelI14inclusive_scanN15benchmark_utils11custom_typeIidEELj63ELj63ELj100EEvPKT0_PS4_S4_.uses_vcc, 1
	.set _Z6kernelI14inclusive_scanN15benchmark_utils11custom_typeIidEELj63ELj63ELj100EEvPKT0_PS4_S4_.uses_flat_scratch, 0
	.set _Z6kernelI14inclusive_scanN15benchmark_utils11custom_typeIidEELj63ELj63ELj100EEvPKT0_PS4_S4_.has_dyn_sized_stack, 0
	.set _Z6kernelI14inclusive_scanN15benchmark_utils11custom_typeIidEELj63ELj63ELj100EEvPKT0_PS4_S4_.has_recursion, 0
	.set _Z6kernelI14inclusive_scanN15benchmark_utils11custom_typeIidEELj63ELj63ELj100EEvPKT0_PS4_S4_.has_indirect_call, 0
	.section	.AMDGPU.csdata,"",@progbits
; Kernel info:
; codeLenInByte = 772
; TotalNumSgprs: 19
; NumVgprs: 20
; ScratchSize: 0
; MemoryBound: 0
; FloatMode: 240
; IeeeMode: 1
; LDSByteSize: 1008 bytes/workgroup (compile time only)
; SGPRBlocks: 2
; VGPRBlocks: 4
; NumSGPRsForWavesPerEU: 19
; NumVGPRsForWavesPerEU: 20
; Occupancy: 10
; WaveLimiterHint : 0
; COMPUTE_PGM_RSRC2:SCRATCH_EN: 0
; COMPUTE_PGM_RSRC2:USER_SGPR: 6
; COMPUTE_PGM_RSRC2:TRAP_HANDLER: 0
; COMPUTE_PGM_RSRC2:TGID_X_EN: 1
; COMPUTE_PGM_RSRC2:TGID_Y_EN: 0
; COMPUTE_PGM_RSRC2:TGID_Z_EN: 0
; COMPUTE_PGM_RSRC2:TIDIG_COMP_CNT: 0
	.section	.text._Z6kernelI14inclusive_scanN15benchmark_utils11custom_typeIidEELj64ELj64ELj100EEvPKT0_PS4_S4_,"axG",@progbits,_Z6kernelI14inclusive_scanN15benchmark_utils11custom_typeIidEELj64ELj64ELj100EEvPKT0_PS4_S4_,comdat
	.protected	_Z6kernelI14inclusive_scanN15benchmark_utils11custom_typeIidEELj64ELj64ELj100EEvPKT0_PS4_S4_ ; -- Begin function _Z6kernelI14inclusive_scanN15benchmark_utils11custom_typeIidEELj64ELj64ELj100EEvPKT0_PS4_S4_
	.globl	_Z6kernelI14inclusive_scanN15benchmark_utils11custom_typeIidEELj64ELj64ELj100EEvPKT0_PS4_S4_
	.p2align	8
	.type	_Z6kernelI14inclusive_scanN15benchmark_utils11custom_typeIidEELj64ELj64ELj100EEvPKT0_PS4_S4_,@function
_Z6kernelI14inclusive_scanN15benchmark_utils11custom_typeIidEELj64ELj64ELj100EEvPKT0_PS4_S4_: ; @_Z6kernelI14inclusive_scanN15benchmark_utils11custom_typeIidEELj64ELj64ELj100EEvPKT0_PS4_S4_
; %bb.0:
	s_load_dword s0, s[4:5], 0x2c
	s_load_dwordx4 s[8:11], s[4:5], 0x0
	v_mov_b32_e32 v1, 0
	s_movk_i32 s14, 0x64
	s_waitcnt lgkmcnt(0)
	s_and_b32 s0, s0, 0xffff
	s_mul_i32 s6, s6, s0
	v_add_u32_e32 v0, s6, v0
	v_lshlrev_b64 v[0:1], 4, v[0:1]
	v_mov_b32_e32 v2, s9
	v_add_co_u32_e32 v4, vcc, s8, v0
	v_addc_co_u32_e32 v5, vcc, v2, v1, vcc
	global_load_dword v6, v[4:5], off
	global_load_dwordx2 v[2:3], v[4:5], off offset:8
	v_mbcnt_lo_u32_b32 v4, -1, 0
	v_mbcnt_hi_u32_b32 v4, -1, v4
	v_and_b32_e32 v5, 15, v4
	v_cmp_ne_u32_e32 vcc, 0, v5
	v_cmp_lt_u32_e64 s[0:1], 1, v5
	v_cmp_lt_u32_e64 s[2:3], 3, v5
	v_cmp_lt_u32_e64 s[4:5], 7, v5
	v_and_b32_e32 v5, 16, v4
	v_cmp_ne_u32_e64 s[6:7], 0, v5
	v_cmp_lt_u32_e64 s[8:9], 31, v4
	s_branch .LBB45_2
.LBB45_1:                               ;   in Loop: Header=BB45_2 Depth=1
	s_or_b64 exec, exec, s[12:13]
	s_add_i32 s14, s14, -1
	s_cmp_lg_u32 s14, 0
	s_cbranch_scc0 .LBB45_14
.LBB45_2:                               ; =>This Inner Loop Header: Depth=1
	s_waitcnt vmcnt(1)
	v_mov_b32_dpp v7, v6 row_shr:1 row_mask:0xf bank_mask:0xf
	s_waitcnt vmcnt(0)
	v_mov_b32_dpp v4, v2 row_shr:1 row_mask:0xf bank_mask:0xf
	v_mov_b32_dpp v5, v3 row_shr:1 row_mask:0xf bank_mask:0xf
	s_and_saveexec_b64 s[12:13], vcc
; %bb.3:                                ;   in Loop: Header=BB45_2 Depth=1
	v_add_f64 v[2:3], v[2:3], v[4:5]
	v_add_u32_e32 v6, v7, v6
; %bb.4:                                ;   in Loop: Header=BB45_2 Depth=1
	s_or_b64 exec, exec, s[12:13]
	s_nop 0
	v_mov_b32_dpp v7, v6 row_shr:2 row_mask:0xf bank_mask:0xf
	v_mov_b32_dpp v4, v2 row_shr:2 row_mask:0xf bank_mask:0xf
	v_mov_b32_dpp v5, v3 row_shr:2 row_mask:0xf bank_mask:0xf
	s_and_saveexec_b64 s[12:13], s[0:1]
; %bb.5:                                ;   in Loop: Header=BB45_2 Depth=1
	v_add_f64 v[2:3], v[2:3], v[4:5]
	v_add_u32_e32 v6, v7, v6
; %bb.6:                                ;   in Loop: Header=BB45_2 Depth=1
	s_or_b64 exec, exec, s[12:13]
	s_nop 0
	v_mov_b32_dpp v7, v6 row_shr:4 row_mask:0xf bank_mask:0xf
	v_mov_b32_dpp v4, v2 row_shr:4 row_mask:0xf bank_mask:0xf
	v_mov_b32_dpp v5, v3 row_shr:4 row_mask:0xf bank_mask:0xf
	s_and_saveexec_b64 s[12:13], s[2:3]
	;; [unrolled: 10-line block ×3, first 2 shown]
; %bb.9:                                ;   in Loop: Header=BB45_2 Depth=1
	v_add_f64 v[2:3], v[2:3], v[4:5]
	v_add_u32_e32 v6, v7, v6
; %bb.10:                               ;   in Loop: Header=BB45_2 Depth=1
	s_or_b64 exec, exec, s[12:13]
	s_nop 0
	v_mov_b32_dpp v7, v6 row_bcast:15 row_mask:0xf bank_mask:0xf
	v_mov_b32_dpp v4, v2 row_bcast:15 row_mask:0xf bank_mask:0xf
	;; [unrolled: 1-line block ×3, first 2 shown]
	s_and_saveexec_b64 s[12:13], s[6:7]
; %bb.11:                               ;   in Loop: Header=BB45_2 Depth=1
	v_add_f64 v[2:3], v[2:3], v[4:5]
	v_add_u32_e32 v6, v7, v6
; %bb.12:                               ;   in Loop: Header=BB45_2 Depth=1
	s_or_b64 exec, exec, s[12:13]
	s_nop 0
	v_mov_b32_dpp v7, v6 row_bcast:31 row_mask:0xf bank_mask:0xf
	v_mov_b32_dpp v4, v2 row_bcast:31 row_mask:0xf bank_mask:0xf
	;; [unrolled: 1-line block ×3, first 2 shown]
	s_and_saveexec_b64 s[12:13], s[8:9]
	s_cbranch_execz .LBB45_1
; %bb.13:                               ;   in Loop: Header=BB45_2 Depth=1
	v_add_f64 v[2:3], v[2:3], v[4:5]
	v_add_u32_e32 v6, v7, v6
	s_branch .LBB45_1
.LBB45_14:
	v_mov_b32_e32 v4, s11
	v_add_co_u32_e32 v0, vcc, s10, v0
	v_addc_co_u32_e32 v1, vcc, v4, v1, vcc
	global_store_dword v[0:1], v6, off
	global_store_dwordx2 v[0:1], v[2:3], off offset:8
	s_endpgm
	.section	.rodata,"a",@progbits
	.p2align	6, 0x0
	.amdhsa_kernel _Z6kernelI14inclusive_scanN15benchmark_utils11custom_typeIidEELj64ELj64ELj100EEvPKT0_PS4_S4_
		.amdhsa_group_segment_fixed_size 0
		.amdhsa_private_segment_fixed_size 0
		.amdhsa_kernarg_size 288
		.amdhsa_user_sgpr_count 6
		.amdhsa_user_sgpr_private_segment_buffer 1
		.amdhsa_user_sgpr_dispatch_ptr 0
		.amdhsa_user_sgpr_queue_ptr 0
		.amdhsa_user_sgpr_kernarg_segment_ptr 1
		.amdhsa_user_sgpr_dispatch_id 0
		.amdhsa_user_sgpr_flat_scratch_init 0
		.amdhsa_user_sgpr_private_segment_size 0
		.amdhsa_uses_dynamic_stack 0
		.amdhsa_system_sgpr_private_segment_wavefront_offset 0
		.amdhsa_system_sgpr_workgroup_id_x 1
		.amdhsa_system_sgpr_workgroup_id_y 0
		.amdhsa_system_sgpr_workgroup_id_z 0
		.amdhsa_system_sgpr_workgroup_info 0
		.amdhsa_system_vgpr_workitem_id 0
		.amdhsa_next_free_vgpr 8
		.amdhsa_next_free_sgpr 15
		.amdhsa_reserve_vcc 1
		.amdhsa_reserve_flat_scratch 0
		.amdhsa_float_round_mode_32 0
		.amdhsa_float_round_mode_16_64 0
		.amdhsa_float_denorm_mode_32 3
		.amdhsa_float_denorm_mode_16_64 3
		.amdhsa_dx10_clamp 1
		.amdhsa_ieee_mode 1
		.amdhsa_fp16_overflow 0
		.amdhsa_exception_fp_ieee_invalid_op 0
		.amdhsa_exception_fp_denorm_src 0
		.amdhsa_exception_fp_ieee_div_zero 0
		.amdhsa_exception_fp_ieee_overflow 0
		.amdhsa_exception_fp_ieee_underflow 0
		.amdhsa_exception_fp_ieee_inexact 0
		.amdhsa_exception_int_div_zero 0
	.end_amdhsa_kernel
	.section	.text._Z6kernelI14inclusive_scanN15benchmark_utils11custom_typeIidEELj64ELj64ELj100EEvPKT0_PS4_S4_,"axG",@progbits,_Z6kernelI14inclusive_scanN15benchmark_utils11custom_typeIidEELj64ELj64ELj100EEvPKT0_PS4_S4_,comdat
.Lfunc_end45:
	.size	_Z6kernelI14inclusive_scanN15benchmark_utils11custom_typeIidEELj64ELj64ELj100EEvPKT0_PS4_S4_, .Lfunc_end45-_Z6kernelI14inclusive_scanN15benchmark_utils11custom_typeIidEELj64ELj64ELj100EEvPKT0_PS4_S4_
                                        ; -- End function
	.set _Z6kernelI14inclusive_scanN15benchmark_utils11custom_typeIidEELj64ELj64ELj100EEvPKT0_PS4_S4_.num_vgpr, 8
	.set _Z6kernelI14inclusive_scanN15benchmark_utils11custom_typeIidEELj64ELj64ELj100EEvPKT0_PS4_S4_.num_agpr, 0
	.set _Z6kernelI14inclusive_scanN15benchmark_utils11custom_typeIidEELj64ELj64ELj100EEvPKT0_PS4_S4_.numbered_sgpr, 15
	.set _Z6kernelI14inclusive_scanN15benchmark_utils11custom_typeIidEELj64ELj64ELj100EEvPKT0_PS4_S4_.num_named_barrier, 0
	.set _Z6kernelI14inclusive_scanN15benchmark_utils11custom_typeIidEELj64ELj64ELj100EEvPKT0_PS4_S4_.private_seg_size, 0
	.set _Z6kernelI14inclusive_scanN15benchmark_utils11custom_typeIidEELj64ELj64ELj100EEvPKT0_PS4_S4_.uses_vcc, 1
	.set _Z6kernelI14inclusive_scanN15benchmark_utils11custom_typeIidEELj64ELj64ELj100EEvPKT0_PS4_S4_.uses_flat_scratch, 0
	.set _Z6kernelI14inclusive_scanN15benchmark_utils11custom_typeIidEELj64ELj64ELj100EEvPKT0_PS4_S4_.has_dyn_sized_stack, 0
	.set _Z6kernelI14inclusive_scanN15benchmark_utils11custom_typeIidEELj64ELj64ELj100EEvPKT0_PS4_S4_.has_recursion, 0
	.set _Z6kernelI14inclusive_scanN15benchmark_utils11custom_typeIidEELj64ELj64ELj100EEvPKT0_PS4_S4_.has_indirect_call, 0
	.section	.AMDGPU.csdata,"",@progbits
; Kernel info:
; codeLenInByte = 496
; TotalNumSgprs: 19
; NumVgprs: 8
; ScratchSize: 0
; MemoryBound: 0
; FloatMode: 240
; IeeeMode: 1
; LDSByteSize: 0 bytes/workgroup (compile time only)
; SGPRBlocks: 2
; VGPRBlocks: 1
; NumSGPRsForWavesPerEU: 19
; NumVGPRsForWavesPerEU: 8
; Occupancy: 10
; WaveLimiterHint : 0
; COMPUTE_PGM_RSRC2:SCRATCH_EN: 0
; COMPUTE_PGM_RSRC2:USER_SGPR: 6
; COMPUTE_PGM_RSRC2:TRAP_HANDLER: 0
; COMPUTE_PGM_RSRC2:TGID_X_EN: 1
; COMPUTE_PGM_RSRC2:TGID_Y_EN: 0
; COMPUTE_PGM_RSRC2:TGID_Z_EN: 0
; COMPUTE_PGM_RSRC2:TIDIG_COMP_CNT: 0
	.section	.text._Z6kernelI14inclusive_scanN15benchmark_utils11custom_typeIidEELj128ELj64ELj100EEvPKT0_PS4_S4_,"axG",@progbits,_Z6kernelI14inclusive_scanN15benchmark_utils11custom_typeIidEELj128ELj64ELj100EEvPKT0_PS4_S4_,comdat
	.protected	_Z6kernelI14inclusive_scanN15benchmark_utils11custom_typeIidEELj128ELj64ELj100EEvPKT0_PS4_S4_ ; -- Begin function _Z6kernelI14inclusive_scanN15benchmark_utils11custom_typeIidEELj128ELj64ELj100EEvPKT0_PS4_S4_
	.globl	_Z6kernelI14inclusive_scanN15benchmark_utils11custom_typeIidEELj128ELj64ELj100EEvPKT0_PS4_S4_
	.p2align	8
	.type	_Z6kernelI14inclusive_scanN15benchmark_utils11custom_typeIidEELj128ELj64ELj100EEvPKT0_PS4_S4_,@function
_Z6kernelI14inclusive_scanN15benchmark_utils11custom_typeIidEELj128ELj64ELj100EEvPKT0_PS4_S4_: ; @_Z6kernelI14inclusive_scanN15benchmark_utils11custom_typeIidEELj128ELj64ELj100EEvPKT0_PS4_S4_
; %bb.0:
	s_load_dword s0, s[4:5], 0x2c
	s_load_dwordx4 s[8:11], s[4:5], 0x0
	v_mov_b32_e32 v1, 0
	s_movk_i32 s14, 0x64
	s_waitcnt lgkmcnt(0)
	s_and_b32 s0, s0, 0xffff
	s_mul_i32 s6, s6, s0
	v_add_u32_e32 v0, s6, v0
	v_lshlrev_b64 v[0:1], 4, v[0:1]
	v_mov_b32_e32 v2, s9
	v_add_co_u32_e32 v4, vcc, s8, v0
	v_addc_co_u32_e32 v5, vcc, v2, v1, vcc
	global_load_dword v6, v[4:5], off
	global_load_dwordx2 v[2:3], v[4:5], off offset:8
	v_mbcnt_lo_u32_b32 v4, -1, 0
	v_mbcnt_hi_u32_b32 v4, -1, v4
	v_and_b32_e32 v5, 15, v4
	v_cmp_ne_u32_e32 vcc, 0, v5
	v_cmp_lt_u32_e64 s[0:1], 1, v5
	v_cmp_lt_u32_e64 s[2:3], 3, v5
	;; [unrolled: 1-line block ×3, first 2 shown]
	v_and_b32_e32 v5, 16, v4
	v_cmp_ne_u32_e64 s[6:7], 0, v5
	v_cmp_lt_u32_e64 s[8:9], 31, v4
	s_branch .LBB46_2
.LBB46_1:                               ;   in Loop: Header=BB46_2 Depth=1
	s_or_b64 exec, exec, s[12:13]
	s_add_i32 s14, s14, -1
	s_cmp_lg_u32 s14, 0
	s_cbranch_scc0 .LBB46_14
.LBB46_2:                               ; =>This Inner Loop Header: Depth=1
	s_waitcnt vmcnt(1)
	v_mov_b32_dpp v7, v6 row_shr:1 row_mask:0xf bank_mask:0xf
	s_waitcnt vmcnt(0)
	v_mov_b32_dpp v4, v2 row_shr:1 row_mask:0xf bank_mask:0xf
	v_mov_b32_dpp v5, v3 row_shr:1 row_mask:0xf bank_mask:0xf
	s_and_saveexec_b64 s[12:13], vcc
; %bb.3:                                ;   in Loop: Header=BB46_2 Depth=1
	v_add_f64 v[2:3], v[2:3], v[4:5]
	v_add_u32_e32 v6, v7, v6
; %bb.4:                                ;   in Loop: Header=BB46_2 Depth=1
	s_or_b64 exec, exec, s[12:13]
	s_nop 0
	v_mov_b32_dpp v7, v6 row_shr:2 row_mask:0xf bank_mask:0xf
	v_mov_b32_dpp v4, v2 row_shr:2 row_mask:0xf bank_mask:0xf
	v_mov_b32_dpp v5, v3 row_shr:2 row_mask:0xf bank_mask:0xf
	s_and_saveexec_b64 s[12:13], s[0:1]
; %bb.5:                                ;   in Loop: Header=BB46_2 Depth=1
	v_add_f64 v[2:3], v[2:3], v[4:5]
	v_add_u32_e32 v6, v7, v6
; %bb.6:                                ;   in Loop: Header=BB46_2 Depth=1
	s_or_b64 exec, exec, s[12:13]
	s_nop 0
	v_mov_b32_dpp v7, v6 row_shr:4 row_mask:0xf bank_mask:0xf
	v_mov_b32_dpp v4, v2 row_shr:4 row_mask:0xf bank_mask:0xf
	v_mov_b32_dpp v5, v3 row_shr:4 row_mask:0xf bank_mask:0xf
	s_and_saveexec_b64 s[12:13], s[2:3]
	;; [unrolled: 10-line block ×3, first 2 shown]
; %bb.9:                                ;   in Loop: Header=BB46_2 Depth=1
	v_add_f64 v[2:3], v[2:3], v[4:5]
	v_add_u32_e32 v6, v7, v6
; %bb.10:                               ;   in Loop: Header=BB46_2 Depth=1
	s_or_b64 exec, exec, s[12:13]
	s_nop 0
	v_mov_b32_dpp v7, v6 row_bcast:15 row_mask:0xf bank_mask:0xf
	v_mov_b32_dpp v4, v2 row_bcast:15 row_mask:0xf bank_mask:0xf
	;; [unrolled: 1-line block ×3, first 2 shown]
	s_and_saveexec_b64 s[12:13], s[6:7]
; %bb.11:                               ;   in Loop: Header=BB46_2 Depth=1
	v_add_f64 v[2:3], v[2:3], v[4:5]
	v_add_u32_e32 v6, v7, v6
; %bb.12:                               ;   in Loop: Header=BB46_2 Depth=1
	s_or_b64 exec, exec, s[12:13]
	s_nop 0
	v_mov_b32_dpp v7, v6 row_bcast:31 row_mask:0xf bank_mask:0xf
	v_mov_b32_dpp v4, v2 row_bcast:31 row_mask:0xf bank_mask:0xf
	;; [unrolled: 1-line block ×3, first 2 shown]
	s_and_saveexec_b64 s[12:13], s[8:9]
	s_cbranch_execz .LBB46_1
; %bb.13:                               ;   in Loop: Header=BB46_2 Depth=1
	v_add_f64 v[2:3], v[2:3], v[4:5]
	v_add_u32_e32 v6, v7, v6
	s_branch .LBB46_1
.LBB46_14:
	v_mov_b32_e32 v4, s11
	v_add_co_u32_e32 v0, vcc, s10, v0
	v_addc_co_u32_e32 v1, vcc, v4, v1, vcc
	global_store_dword v[0:1], v6, off
	global_store_dwordx2 v[0:1], v[2:3], off offset:8
	s_endpgm
	.section	.rodata,"a",@progbits
	.p2align	6, 0x0
	.amdhsa_kernel _Z6kernelI14inclusive_scanN15benchmark_utils11custom_typeIidEELj128ELj64ELj100EEvPKT0_PS4_S4_
		.amdhsa_group_segment_fixed_size 0
		.amdhsa_private_segment_fixed_size 0
		.amdhsa_kernarg_size 288
		.amdhsa_user_sgpr_count 6
		.amdhsa_user_sgpr_private_segment_buffer 1
		.amdhsa_user_sgpr_dispatch_ptr 0
		.amdhsa_user_sgpr_queue_ptr 0
		.amdhsa_user_sgpr_kernarg_segment_ptr 1
		.amdhsa_user_sgpr_dispatch_id 0
		.amdhsa_user_sgpr_flat_scratch_init 0
		.amdhsa_user_sgpr_private_segment_size 0
		.amdhsa_uses_dynamic_stack 0
		.amdhsa_system_sgpr_private_segment_wavefront_offset 0
		.amdhsa_system_sgpr_workgroup_id_x 1
		.amdhsa_system_sgpr_workgroup_id_y 0
		.amdhsa_system_sgpr_workgroup_id_z 0
		.amdhsa_system_sgpr_workgroup_info 0
		.amdhsa_system_vgpr_workitem_id 0
		.amdhsa_next_free_vgpr 8
		.amdhsa_next_free_sgpr 15
		.amdhsa_reserve_vcc 1
		.amdhsa_reserve_flat_scratch 0
		.amdhsa_float_round_mode_32 0
		.amdhsa_float_round_mode_16_64 0
		.amdhsa_float_denorm_mode_32 3
		.amdhsa_float_denorm_mode_16_64 3
		.amdhsa_dx10_clamp 1
		.amdhsa_ieee_mode 1
		.amdhsa_fp16_overflow 0
		.amdhsa_exception_fp_ieee_invalid_op 0
		.amdhsa_exception_fp_denorm_src 0
		.amdhsa_exception_fp_ieee_div_zero 0
		.amdhsa_exception_fp_ieee_overflow 0
		.amdhsa_exception_fp_ieee_underflow 0
		.amdhsa_exception_fp_ieee_inexact 0
		.amdhsa_exception_int_div_zero 0
	.end_amdhsa_kernel
	.section	.text._Z6kernelI14inclusive_scanN15benchmark_utils11custom_typeIidEELj128ELj64ELj100EEvPKT0_PS4_S4_,"axG",@progbits,_Z6kernelI14inclusive_scanN15benchmark_utils11custom_typeIidEELj128ELj64ELj100EEvPKT0_PS4_S4_,comdat
.Lfunc_end46:
	.size	_Z6kernelI14inclusive_scanN15benchmark_utils11custom_typeIidEELj128ELj64ELj100EEvPKT0_PS4_S4_, .Lfunc_end46-_Z6kernelI14inclusive_scanN15benchmark_utils11custom_typeIidEELj128ELj64ELj100EEvPKT0_PS4_S4_
                                        ; -- End function
	.set _Z6kernelI14inclusive_scanN15benchmark_utils11custom_typeIidEELj128ELj64ELj100EEvPKT0_PS4_S4_.num_vgpr, 8
	.set _Z6kernelI14inclusive_scanN15benchmark_utils11custom_typeIidEELj128ELj64ELj100EEvPKT0_PS4_S4_.num_agpr, 0
	.set _Z6kernelI14inclusive_scanN15benchmark_utils11custom_typeIidEELj128ELj64ELj100EEvPKT0_PS4_S4_.numbered_sgpr, 15
	.set _Z6kernelI14inclusive_scanN15benchmark_utils11custom_typeIidEELj128ELj64ELj100EEvPKT0_PS4_S4_.num_named_barrier, 0
	.set _Z6kernelI14inclusive_scanN15benchmark_utils11custom_typeIidEELj128ELj64ELj100EEvPKT0_PS4_S4_.private_seg_size, 0
	.set _Z6kernelI14inclusive_scanN15benchmark_utils11custom_typeIidEELj128ELj64ELj100EEvPKT0_PS4_S4_.uses_vcc, 1
	.set _Z6kernelI14inclusive_scanN15benchmark_utils11custom_typeIidEELj128ELj64ELj100EEvPKT0_PS4_S4_.uses_flat_scratch, 0
	.set _Z6kernelI14inclusive_scanN15benchmark_utils11custom_typeIidEELj128ELj64ELj100EEvPKT0_PS4_S4_.has_dyn_sized_stack, 0
	.set _Z6kernelI14inclusive_scanN15benchmark_utils11custom_typeIidEELj128ELj64ELj100EEvPKT0_PS4_S4_.has_recursion, 0
	.set _Z6kernelI14inclusive_scanN15benchmark_utils11custom_typeIidEELj128ELj64ELj100EEvPKT0_PS4_S4_.has_indirect_call, 0
	.section	.AMDGPU.csdata,"",@progbits
; Kernel info:
; codeLenInByte = 496
; TotalNumSgprs: 19
; NumVgprs: 8
; ScratchSize: 0
; MemoryBound: 0
; FloatMode: 240
; IeeeMode: 1
; LDSByteSize: 0 bytes/workgroup (compile time only)
; SGPRBlocks: 2
; VGPRBlocks: 1
; NumSGPRsForWavesPerEU: 19
; NumVGPRsForWavesPerEU: 8
; Occupancy: 10
; WaveLimiterHint : 0
; COMPUTE_PGM_RSRC2:SCRATCH_EN: 0
; COMPUTE_PGM_RSRC2:USER_SGPR: 6
; COMPUTE_PGM_RSRC2:TRAP_HANDLER: 0
; COMPUTE_PGM_RSRC2:TGID_X_EN: 1
; COMPUTE_PGM_RSRC2:TGID_Y_EN: 0
; COMPUTE_PGM_RSRC2:TGID_Z_EN: 0
; COMPUTE_PGM_RSRC2:TIDIG_COMP_CNT: 0
	.section	.text._Z6kernelI14inclusive_scanN15benchmark_utils11custom_typeIidEELj256ELj64ELj100EEvPKT0_PS4_S4_,"axG",@progbits,_Z6kernelI14inclusive_scanN15benchmark_utils11custom_typeIidEELj256ELj64ELj100EEvPKT0_PS4_S4_,comdat
	.protected	_Z6kernelI14inclusive_scanN15benchmark_utils11custom_typeIidEELj256ELj64ELj100EEvPKT0_PS4_S4_ ; -- Begin function _Z6kernelI14inclusive_scanN15benchmark_utils11custom_typeIidEELj256ELj64ELj100EEvPKT0_PS4_S4_
	.globl	_Z6kernelI14inclusive_scanN15benchmark_utils11custom_typeIidEELj256ELj64ELj100EEvPKT0_PS4_S4_
	.p2align	8
	.type	_Z6kernelI14inclusive_scanN15benchmark_utils11custom_typeIidEELj256ELj64ELj100EEvPKT0_PS4_S4_,@function
_Z6kernelI14inclusive_scanN15benchmark_utils11custom_typeIidEELj256ELj64ELj100EEvPKT0_PS4_S4_: ; @_Z6kernelI14inclusive_scanN15benchmark_utils11custom_typeIidEELj256ELj64ELj100EEvPKT0_PS4_S4_
; %bb.0:
	s_load_dword s0, s[4:5], 0x2c
	s_load_dwordx4 s[8:11], s[4:5], 0x0
	v_mov_b32_e32 v1, 0
	s_movk_i32 s14, 0x64
	s_waitcnt lgkmcnt(0)
	s_and_b32 s0, s0, 0xffff
	s_mul_i32 s6, s6, s0
	v_add_u32_e32 v0, s6, v0
	v_lshlrev_b64 v[0:1], 4, v[0:1]
	v_mov_b32_e32 v2, s9
	v_add_co_u32_e32 v4, vcc, s8, v0
	v_addc_co_u32_e32 v5, vcc, v2, v1, vcc
	global_load_dword v6, v[4:5], off
	global_load_dwordx2 v[2:3], v[4:5], off offset:8
	v_mbcnt_lo_u32_b32 v4, -1, 0
	v_mbcnt_hi_u32_b32 v4, -1, v4
	v_and_b32_e32 v5, 15, v4
	v_cmp_ne_u32_e32 vcc, 0, v5
	v_cmp_lt_u32_e64 s[0:1], 1, v5
	v_cmp_lt_u32_e64 s[2:3], 3, v5
	;; [unrolled: 1-line block ×3, first 2 shown]
	v_and_b32_e32 v5, 16, v4
	v_cmp_ne_u32_e64 s[6:7], 0, v5
	v_cmp_lt_u32_e64 s[8:9], 31, v4
	s_branch .LBB47_2
.LBB47_1:                               ;   in Loop: Header=BB47_2 Depth=1
	s_or_b64 exec, exec, s[12:13]
	s_add_i32 s14, s14, -1
	s_cmp_lg_u32 s14, 0
	s_cbranch_scc0 .LBB47_14
.LBB47_2:                               ; =>This Inner Loop Header: Depth=1
	s_waitcnt vmcnt(1)
	v_mov_b32_dpp v7, v6 row_shr:1 row_mask:0xf bank_mask:0xf
	s_waitcnt vmcnt(0)
	v_mov_b32_dpp v4, v2 row_shr:1 row_mask:0xf bank_mask:0xf
	v_mov_b32_dpp v5, v3 row_shr:1 row_mask:0xf bank_mask:0xf
	s_and_saveexec_b64 s[12:13], vcc
; %bb.3:                                ;   in Loop: Header=BB47_2 Depth=1
	v_add_f64 v[2:3], v[2:3], v[4:5]
	v_add_u32_e32 v6, v7, v6
; %bb.4:                                ;   in Loop: Header=BB47_2 Depth=1
	s_or_b64 exec, exec, s[12:13]
	s_nop 0
	v_mov_b32_dpp v7, v6 row_shr:2 row_mask:0xf bank_mask:0xf
	v_mov_b32_dpp v4, v2 row_shr:2 row_mask:0xf bank_mask:0xf
	v_mov_b32_dpp v5, v3 row_shr:2 row_mask:0xf bank_mask:0xf
	s_and_saveexec_b64 s[12:13], s[0:1]
; %bb.5:                                ;   in Loop: Header=BB47_2 Depth=1
	v_add_f64 v[2:3], v[2:3], v[4:5]
	v_add_u32_e32 v6, v7, v6
; %bb.6:                                ;   in Loop: Header=BB47_2 Depth=1
	s_or_b64 exec, exec, s[12:13]
	s_nop 0
	v_mov_b32_dpp v7, v6 row_shr:4 row_mask:0xf bank_mask:0xf
	v_mov_b32_dpp v4, v2 row_shr:4 row_mask:0xf bank_mask:0xf
	v_mov_b32_dpp v5, v3 row_shr:4 row_mask:0xf bank_mask:0xf
	s_and_saveexec_b64 s[12:13], s[2:3]
	;; [unrolled: 10-line block ×3, first 2 shown]
; %bb.9:                                ;   in Loop: Header=BB47_2 Depth=1
	v_add_f64 v[2:3], v[2:3], v[4:5]
	v_add_u32_e32 v6, v7, v6
; %bb.10:                               ;   in Loop: Header=BB47_2 Depth=1
	s_or_b64 exec, exec, s[12:13]
	s_nop 0
	v_mov_b32_dpp v7, v6 row_bcast:15 row_mask:0xf bank_mask:0xf
	v_mov_b32_dpp v4, v2 row_bcast:15 row_mask:0xf bank_mask:0xf
	;; [unrolled: 1-line block ×3, first 2 shown]
	s_and_saveexec_b64 s[12:13], s[6:7]
; %bb.11:                               ;   in Loop: Header=BB47_2 Depth=1
	v_add_f64 v[2:3], v[2:3], v[4:5]
	v_add_u32_e32 v6, v7, v6
; %bb.12:                               ;   in Loop: Header=BB47_2 Depth=1
	s_or_b64 exec, exec, s[12:13]
	s_nop 0
	v_mov_b32_dpp v7, v6 row_bcast:31 row_mask:0xf bank_mask:0xf
	v_mov_b32_dpp v4, v2 row_bcast:31 row_mask:0xf bank_mask:0xf
	;; [unrolled: 1-line block ×3, first 2 shown]
	s_and_saveexec_b64 s[12:13], s[8:9]
	s_cbranch_execz .LBB47_1
; %bb.13:                               ;   in Loop: Header=BB47_2 Depth=1
	v_add_f64 v[2:3], v[2:3], v[4:5]
	v_add_u32_e32 v6, v7, v6
	s_branch .LBB47_1
.LBB47_14:
	v_mov_b32_e32 v4, s11
	v_add_co_u32_e32 v0, vcc, s10, v0
	v_addc_co_u32_e32 v1, vcc, v4, v1, vcc
	global_store_dword v[0:1], v6, off
	global_store_dwordx2 v[0:1], v[2:3], off offset:8
	s_endpgm
	.section	.rodata,"a",@progbits
	.p2align	6, 0x0
	.amdhsa_kernel _Z6kernelI14inclusive_scanN15benchmark_utils11custom_typeIidEELj256ELj64ELj100EEvPKT0_PS4_S4_
		.amdhsa_group_segment_fixed_size 0
		.amdhsa_private_segment_fixed_size 0
		.amdhsa_kernarg_size 288
		.amdhsa_user_sgpr_count 6
		.amdhsa_user_sgpr_private_segment_buffer 1
		.amdhsa_user_sgpr_dispatch_ptr 0
		.amdhsa_user_sgpr_queue_ptr 0
		.amdhsa_user_sgpr_kernarg_segment_ptr 1
		.amdhsa_user_sgpr_dispatch_id 0
		.amdhsa_user_sgpr_flat_scratch_init 0
		.amdhsa_user_sgpr_private_segment_size 0
		.amdhsa_uses_dynamic_stack 0
		.amdhsa_system_sgpr_private_segment_wavefront_offset 0
		.amdhsa_system_sgpr_workgroup_id_x 1
		.amdhsa_system_sgpr_workgroup_id_y 0
		.amdhsa_system_sgpr_workgroup_id_z 0
		.amdhsa_system_sgpr_workgroup_info 0
		.amdhsa_system_vgpr_workitem_id 0
		.amdhsa_next_free_vgpr 8
		.amdhsa_next_free_sgpr 15
		.amdhsa_reserve_vcc 1
		.amdhsa_reserve_flat_scratch 0
		.amdhsa_float_round_mode_32 0
		.amdhsa_float_round_mode_16_64 0
		.amdhsa_float_denorm_mode_32 3
		.amdhsa_float_denorm_mode_16_64 3
		.amdhsa_dx10_clamp 1
		.amdhsa_ieee_mode 1
		.amdhsa_fp16_overflow 0
		.amdhsa_exception_fp_ieee_invalid_op 0
		.amdhsa_exception_fp_denorm_src 0
		.amdhsa_exception_fp_ieee_div_zero 0
		.amdhsa_exception_fp_ieee_overflow 0
		.amdhsa_exception_fp_ieee_underflow 0
		.amdhsa_exception_fp_ieee_inexact 0
		.amdhsa_exception_int_div_zero 0
	.end_amdhsa_kernel
	.section	.text._Z6kernelI14inclusive_scanN15benchmark_utils11custom_typeIidEELj256ELj64ELj100EEvPKT0_PS4_S4_,"axG",@progbits,_Z6kernelI14inclusive_scanN15benchmark_utils11custom_typeIidEELj256ELj64ELj100EEvPKT0_PS4_S4_,comdat
.Lfunc_end47:
	.size	_Z6kernelI14inclusive_scanN15benchmark_utils11custom_typeIidEELj256ELj64ELj100EEvPKT0_PS4_S4_, .Lfunc_end47-_Z6kernelI14inclusive_scanN15benchmark_utils11custom_typeIidEELj256ELj64ELj100EEvPKT0_PS4_S4_
                                        ; -- End function
	.set _Z6kernelI14inclusive_scanN15benchmark_utils11custom_typeIidEELj256ELj64ELj100EEvPKT0_PS4_S4_.num_vgpr, 8
	.set _Z6kernelI14inclusive_scanN15benchmark_utils11custom_typeIidEELj256ELj64ELj100EEvPKT0_PS4_S4_.num_agpr, 0
	.set _Z6kernelI14inclusive_scanN15benchmark_utils11custom_typeIidEELj256ELj64ELj100EEvPKT0_PS4_S4_.numbered_sgpr, 15
	.set _Z6kernelI14inclusive_scanN15benchmark_utils11custom_typeIidEELj256ELj64ELj100EEvPKT0_PS4_S4_.num_named_barrier, 0
	.set _Z6kernelI14inclusive_scanN15benchmark_utils11custom_typeIidEELj256ELj64ELj100EEvPKT0_PS4_S4_.private_seg_size, 0
	.set _Z6kernelI14inclusive_scanN15benchmark_utils11custom_typeIidEELj256ELj64ELj100EEvPKT0_PS4_S4_.uses_vcc, 1
	.set _Z6kernelI14inclusive_scanN15benchmark_utils11custom_typeIidEELj256ELj64ELj100EEvPKT0_PS4_S4_.uses_flat_scratch, 0
	.set _Z6kernelI14inclusive_scanN15benchmark_utils11custom_typeIidEELj256ELj64ELj100EEvPKT0_PS4_S4_.has_dyn_sized_stack, 0
	.set _Z6kernelI14inclusive_scanN15benchmark_utils11custom_typeIidEELj256ELj64ELj100EEvPKT0_PS4_S4_.has_recursion, 0
	.set _Z6kernelI14inclusive_scanN15benchmark_utils11custom_typeIidEELj256ELj64ELj100EEvPKT0_PS4_S4_.has_indirect_call, 0
	.section	.AMDGPU.csdata,"",@progbits
; Kernel info:
; codeLenInByte = 496
; TotalNumSgprs: 19
; NumVgprs: 8
; ScratchSize: 0
; MemoryBound: 0
; FloatMode: 240
; IeeeMode: 1
; LDSByteSize: 0 bytes/workgroup (compile time only)
; SGPRBlocks: 2
; VGPRBlocks: 1
; NumSGPRsForWavesPerEU: 19
; NumVGPRsForWavesPerEU: 8
; Occupancy: 10
; WaveLimiterHint : 0
; COMPUTE_PGM_RSRC2:SCRATCH_EN: 0
; COMPUTE_PGM_RSRC2:USER_SGPR: 6
; COMPUTE_PGM_RSRC2:TRAP_HANDLER: 0
; COMPUTE_PGM_RSRC2:TGID_X_EN: 1
; COMPUTE_PGM_RSRC2:TGID_Y_EN: 0
; COMPUTE_PGM_RSRC2:TGID_Z_EN: 0
; COMPUTE_PGM_RSRC2:TIDIG_COMP_CNT: 0
	.section	.text._Z6kernelI14exclusive_scaniLj60ELj15ELj100EEvPKT0_PS1_S1_,"axG",@progbits,_Z6kernelI14exclusive_scaniLj60ELj15ELj100EEvPKT0_PS1_S1_,comdat
	.protected	_Z6kernelI14exclusive_scaniLj60ELj15ELj100EEvPKT0_PS1_S1_ ; -- Begin function _Z6kernelI14exclusive_scaniLj60ELj15ELj100EEvPKT0_PS1_S1_
	.globl	_Z6kernelI14exclusive_scaniLj60ELj15ELj100EEvPKT0_PS1_S1_
	.p2align	8
	.type	_Z6kernelI14exclusive_scaniLj60ELj15ELj100EEvPKT0_PS1_S1_,@function
_Z6kernelI14exclusive_scaniLj60ELj15ELj100EEvPKT0_PS1_S1_: ; @_Z6kernelI14exclusive_scaniLj60ELj15ELj100EEvPKT0_PS1_S1_
; %bb.0:
	s_load_dword s0, s[4:5], 0x24
	s_load_dwordx4 s[8:11], s[4:5], 0x0
	s_load_dword s12, s[4:5], 0x10
	v_mov_b32_e32 v1, 0
	s_waitcnt lgkmcnt(0)
	s_and_b32 s0, s0, 0xffff
	s_mul_i32 s6, s6, s0
	v_add_u32_e32 v0, s6, v0
	v_lshlrev_b64 v[0:1], 2, v[0:1]
	v_mov_b32_e32 v3, s9
	v_add_co_u32_e32 v2, vcc, s8, v0
	v_addc_co_u32_e32 v3, vcc, v3, v1, vcc
	global_load_dword v2, v[2:3], off
	v_mbcnt_lo_u32_b32 v3, -1, 0
	v_mbcnt_hi_u32_b32 v3, -1, v3
	s_mov_b32 s0, 0x11111112
	v_mul_hi_u32 v4, v3, s0
	s_movk_i32 s8, 0x64
	v_mul_u32_u24_e32 v4, 15, v4
	v_sub_u32_e32 v4, v3, v4
	v_lshlrev_b32_e32 v3, 2, v4
	v_cmp_ne_u32_e32 vcc, 0, v4
	v_cmp_lt_u32_e64 s[0:1], 1, v4
	v_cmp_lt_u32_e64 s[2:3], 3, v4
	;; [unrolled: 1-line block ×3, first 2 shown]
	v_add_u32_e32 v4, -4, v3
	v_add_u32_e32 v5, -8, v3
	;; [unrolled: 1-line block ×3, first 2 shown]
	v_subrev_u32_e32 v7, 32, v3
	s_branch .LBB48_2
.LBB48_1:                               ;   in Loop: Header=BB48_2 Depth=1
	s_or_b64 exec, exec, s[6:7]
	s_add_i32 s8, s8, -1
	s_cmp_lg_u32 s8, 0
	s_cbranch_scc0 .LBB48_20
.LBB48_2:                               ; =>This Inner Loop Header: Depth=1
	s_waitcnt vmcnt(0)
	ds_write_b32 v3, v2
	; wave barrier
	s_and_saveexec_b64 s[6:7], vcc
	s_cbranch_execz .LBB48_4
; %bb.3:                                ;   in Loop: Header=BB48_2 Depth=1
	ds_read_b32 v8, v4
	s_waitcnt lgkmcnt(0)
	v_add_u32_e32 v2, v8, v2
.LBB48_4:                               ;   in Loop: Header=BB48_2 Depth=1
	s_or_b64 exec, exec, s[6:7]
	; wave barrier
	s_and_saveexec_b64 s[6:7], vcc
; %bb.5:                                ;   in Loop: Header=BB48_2 Depth=1
	ds_write_b32 v3, v2
; %bb.6:                                ;   in Loop: Header=BB48_2 Depth=1
	s_or_b64 exec, exec, s[6:7]
	; wave barrier
	s_and_saveexec_b64 s[6:7], s[0:1]
	s_cbranch_execz .LBB48_8
; %bb.7:                                ;   in Loop: Header=BB48_2 Depth=1
	ds_read_b32 v8, v5
	s_waitcnt lgkmcnt(0)
	v_add_u32_e32 v2, v8, v2
.LBB48_8:                               ;   in Loop: Header=BB48_2 Depth=1
	s_or_b64 exec, exec, s[6:7]
	; wave barrier
	s_and_saveexec_b64 s[6:7], s[0:1]
; %bb.9:                                ;   in Loop: Header=BB48_2 Depth=1
	ds_write_b32 v3, v2
; %bb.10:                               ;   in Loop: Header=BB48_2 Depth=1
	s_or_b64 exec, exec, s[6:7]
	; wave barrier
	s_and_saveexec_b64 s[6:7], s[2:3]
	s_cbranch_execz .LBB48_12
; %bb.11:                               ;   in Loop: Header=BB48_2 Depth=1
	ds_read_b32 v8, v6
	s_waitcnt lgkmcnt(0)
	v_add_u32_e32 v2, v8, v2
.LBB48_12:                              ;   in Loop: Header=BB48_2 Depth=1
	s_or_b64 exec, exec, s[6:7]
	; wave barrier
	s_and_saveexec_b64 s[6:7], s[2:3]
; %bb.13:                               ;   in Loop: Header=BB48_2 Depth=1
	ds_write_b32 v3, v2
; %bb.14:                               ;   in Loop: Header=BB48_2 Depth=1
	s_or_b64 exec, exec, s[6:7]
	; wave barrier
	s_and_saveexec_b64 s[6:7], s[4:5]
	s_cbranch_execz .LBB48_16
; %bb.15:                               ;   in Loop: Header=BB48_2 Depth=1
	ds_read_b32 v8, v7
	s_waitcnt lgkmcnt(0)
	v_add_u32_e32 v2, v8, v2
.LBB48_16:                              ;   in Loop: Header=BB48_2 Depth=1
	s_or_b64 exec, exec, s[6:7]
	; wave barrier
	s_and_saveexec_b64 s[6:7], s[4:5]
; %bb.17:                               ;   in Loop: Header=BB48_2 Depth=1
	ds_write_b32 v3, v2
; %bb.18:                               ;   in Loop: Header=BB48_2 Depth=1
	s_or_b64 exec, exec, s[6:7]
	v_mov_b32_e32 v2, s12
	; wave barrier
	s_and_saveexec_b64 s[6:7], vcc
	s_cbranch_execz .LBB48_1
; %bb.19:                               ;   in Loop: Header=BB48_2 Depth=1
	ds_read_b32 v2, v4
	s_waitcnt lgkmcnt(0)
	v_add_u32_e32 v2, s12, v2
	s_branch .LBB48_1
.LBB48_20:
	v_mov_b32_e32 v3, s11
	v_add_co_u32_e32 v0, vcc, s10, v0
	v_addc_co_u32_e32 v1, vcc, v3, v1, vcc
	global_store_dword v[0:1], v2, off
	s_endpgm
	.section	.rodata,"a",@progbits
	.p2align	6, 0x0
	.amdhsa_kernel _Z6kernelI14exclusive_scaniLj60ELj15ELj100EEvPKT0_PS1_S1_
		.amdhsa_group_segment_fixed_size 60
		.amdhsa_private_segment_fixed_size 0
		.amdhsa_kernarg_size 280
		.amdhsa_user_sgpr_count 6
		.amdhsa_user_sgpr_private_segment_buffer 1
		.amdhsa_user_sgpr_dispatch_ptr 0
		.amdhsa_user_sgpr_queue_ptr 0
		.amdhsa_user_sgpr_kernarg_segment_ptr 1
		.amdhsa_user_sgpr_dispatch_id 0
		.amdhsa_user_sgpr_flat_scratch_init 0
		.amdhsa_user_sgpr_private_segment_size 0
		.amdhsa_uses_dynamic_stack 0
		.amdhsa_system_sgpr_private_segment_wavefront_offset 0
		.amdhsa_system_sgpr_workgroup_id_x 1
		.amdhsa_system_sgpr_workgroup_id_y 0
		.amdhsa_system_sgpr_workgroup_id_z 0
		.amdhsa_system_sgpr_workgroup_info 0
		.amdhsa_system_vgpr_workitem_id 0
		.amdhsa_next_free_vgpr 9
		.amdhsa_next_free_sgpr 13
		.amdhsa_reserve_vcc 1
		.amdhsa_reserve_flat_scratch 0
		.amdhsa_float_round_mode_32 0
		.amdhsa_float_round_mode_16_64 0
		.amdhsa_float_denorm_mode_32 3
		.amdhsa_float_denorm_mode_16_64 3
		.amdhsa_dx10_clamp 1
		.amdhsa_ieee_mode 1
		.amdhsa_fp16_overflow 0
		.amdhsa_exception_fp_ieee_invalid_op 0
		.amdhsa_exception_fp_denorm_src 0
		.amdhsa_exception_fp_ieee_div_zero 0
		.amdhsa_exception_fp_ieee_overflow 0
		.amdhsa_exception_fp_ieee_underflow 0
		.amdhsa_exception_fp_ieee_inexact 0
		.amdhsa_exception_int_div_zero 0
	.end_amdhsa_kernel
	.section	.text._Z6kernelI14exclusive_scaniLj60ELj15ELj100EEvPKT0_PS1_S1_,"axG",@progbits,_Z6kernelI14exclusive_scaniLj60ELj15ELj100EEvPKT0_PS1_S1_,comdat
.Lfunc_end48:
	.size	_Z6kernelI14exclusive_scaniLj60ELj15ELj100EEvPKT0_PS1_S1_, .Lfunc_end48-_Z6kernelI14exclusive_scaniLj60ELj15ELj100EEvPKT0_PS1_S1_
                                        ; -- End function
	.set _Z6kernelI14exclusive_scaniLj60ELj15ELj100EEvPKT0_PS1_S1_.num_vgpr, 9
	.set _Z6kernelI14exclusive_scaniLj60ELj15ELj100EEvPKT0_PS1_S1_.num_agpr, 0
	.set _Z6kernelI14exclusive_scaniLj60ELj15ELj100EEvPKT0_PS1_S1_.numbered_sgpr, 13
	.set _Z6kernelI14exclusive_scaniLj60ELj15ELj100EEvPKT0_PS1_S1_.num_named_barrier, 0
	.set _Z6kernelI14exclusive_scaniLj60ELj15ELj100EEvPKT0_PS1_S1_.private_seg_size, 0
	.set _Z6kernelI14exclusive_scaniLj60ELj15ELj100EEvPKT0_PS1_S1_.uses_vcc, 1
	.set _Z6kernelI14exclusive_scaniLj60ELj15ELj100EEvPKT0_PS1_S1_.uses_flat_scratch, 0
	.set _Z6kernelI14exclusive_scaniLj60ELj15ELj100EEvPKT0_PS1_S1_.has_dyn_sized_stack, 0
	.set _Z6kernelI14exclusive_scaniLj60ELj15ELj100EEvPKT0_PS1_S1_.has_recursion, 0
	.set _Z6kernelI14exclusive_scaniLj60ELj15ELj100EEvPKT0_PS1_S1_.has_indirect_call, 0
	.section	.AMDGPU.csdata,"",@progbits
; Kernel info:
; codeLenInByte = 432
; TotalNumSgprs: 17
; NumVgprs: 9
; ScratchSize: 0
; MemoryBound: 0
; FloatMode: 240
; IeeeMode: 1
; LDSByteSize: 60 bytes/workgroup (compile time only)
; SGPRBlocks: 2
; VGPRBlocks: 2
; NumSGPRsForWavesPerEU: 17
; NumVGPRsForWavesPerEU: 9
; Occupancy: 10
; WaveLimiterHint : 0
; COMPUTE_PGM_RSRC2:SCRATCH_EN: 0
; COMPUTE_PGM_RSRC2:USER_SGPR: 6
; COMPUTE_PGM_RSRC2:TRAP_HANDLER: 0
; COMPUTE_PGM_RSRC2:TGID_X_EN: 1
; COMPUTE_PGM_RSRC2:TGID_Y_EN: 0
; COMPUTE_PGM_RSRC2:TGID_Z_EN: 0
; COMPUTE_PGM_RSRC2:TIDIG_COMP_CNT: 0
	.section	.text._Z6kernelI14exclusive_scaniLj256ELj16ELj100EEvPKT0_PS1_S1_,"axG",@progbits,_Z6kernelI14exclusive_scaniLj256ELj16ELj100EEvPKT0_PS1_S1_,comdat
	.protected	_Z6kernelI14exclusive_scaniLj256ELj16ELj100EEvPKT0_PS1_S1_ ; -- Begin function _Z6kernelI14exclusive_scaniLj256ELj16ELj100EEvPKT0_PS1_S1_
	.globl	_Z6kernelI14exclusive_scaniLj256ELj16ELj100EEvPKT0_PS1_S1_
	.p2align	8
	.type	_Z6kernelI14exclusive_scaniLj256ELj16ELj100EEvPKT0_PS1_S1_,@function
_Z6kernelI14exclusive_scaniLj256ELj16ELj100EEvPKT0_PS1_S1_: ; @_Z6kernelI14exclusive_scaniLj256ELj16ELj100EEvPKT0_PS1_S1_
; %bb.0:
	s_load_dword s0, s[4:5], 0x24
	s_load_dwordx4 s[8:11], s[4:5], 0x0
	s_load_dword s12, s[4:5], 0x10
	v_mov_b32_e32 v1, 0
	s_waitcnt lgkmcnt(0)
	s_and_b32 s0, s0, 0xffff
	s_mul_i32 s6, s6, s0
	v_add_u32_e32 v0, s6, v0
	v_lshlrev_b64 v[0:1], 2, v[0:1]
	v_mov_b32_e32 v3, s9
	v_add_co_u32_e32 v2, vcc, s8, v0
	v_addc_co_u32_e32 v3, vcc, v3, v1, vcc
	global_load_dword v2, v[2:3], off
	v_mbcnt_lo_u32_b32 v3, -1, 0
	v_mbcnt_hi_u32_b32 v3, -1, v3
	v_and_b32_e32 v4, 15, v3
	v_cmp_eq_u32_e32 vcc, 0, v4
	v_cmp_lt_u32_e64 s[0:1], 1, v4
	v_cmp_lt_u32_e64 s[2:3], 3, v4
	v_cmp_lt_u32_e64 s[4:5], 7, v4
	v_add_u32_e32 v4, -1, v3
	v_and_b32_e32 v5, 0x70, v3
	v_cmp_lt_i32_e64 s[6:7], v4, v5
	v_cndmask_b32_e64 v3, v4, v3, s[6:7]
	v_lshlrev_b32_e32 v3, 2, v3
	s_movk_i32 s6, 0x64
	v_mov_b32_e32 v4, s12
.LBB49_1:                               ; =>This Inner Loop Header: Depth=1
	s_waitcnt vmcnt(0)
	v_mov_b32_dpp v5, v2 row_shr:1 row_mask:0xf bank_mask:0xf
	v_cndmask_b32_e64 v5, v5, 0, vcc
	v_add_u32_e32 v2, v5, v2
	s_add_i32 s6, s6, -1
	s_cmp_lg_u32 s6, 0
	v_mov_b32_dpp v5, v2 row_shr:2 row_mask:0xf bank_mask:0xf
	v_cndmask_b32_e64 v5, 0, v5, s[0:1]
	v_add_u32_e32 v2, v2, v5
	s_nop 1
	v_mov_b32_dpp v5, v2 row_shr:4 row_mask:0xf bank_mask:0xf
	v_cndmask_b32_e64 v5, 0, v5, s[2:3]
	v_add_u32_e32 v2, v2, v5
	s_nop 1
	v_mov_b32_dpp v5, v2 row_shr:8 row_mask:0xf bank_mask:0xf
	v_cndmask_b32_e64 v5, 0, v5, s[4:5]
	v_add3_u32 v2, v5, s12, v2
	ds_bpermute_b32 v2, v3, v2
	s_waitcnt lgkmcnt(0)
	v_cndmask_b32_e32 v2, v2, v4, vcc
	s_cbranch_scc1 .LBB49_1
; %bb.2:
	v_mov_b32_e32 v3, s11
	v_add_co_u32_e32 v0, vcc, s10, v0
	v_addc_co_u32_e32 v1, vcc, v3, v1, vcc
	global_store_dword v[0:1], v2, off
	s_endpgm
	.section	.rodata,"a",@progbits
	.p2align	6, 0x0
	.amdhsa_kernel _Z6kernelI14exclusive_scaniLj256ELj16ELj100EEvPKT0_PS1_S1_
		.amdhsa_group_segment_fixed_size 0
		.amdhsa_private_segment_fixed_size 0
		.amdhsa_kernarg_size 280
		.amdhsa_user_sgpr_count 6
		.amdhsa_user_sgpr_private_segment_buffer 1
		.amdhsa_user_sgpr_dispatch_ptr 0
		.amdhsa_user_sgpr_queue_ptr 0
		.amdhsa_user_sgpr_kernarg_segment_ptr 1
		.amdhsa_user_sgpr_dispatch_id 0
		.amdhsa_user_sgpr_flat_scratch_init 0
		.amdhsa_user_sgpr_private_segment_size 0
		.amdhsa_uses_dynamic_stack 0
		.amdhsa_system_sgpr_private_segment_wavefront_offset 0
		.amdhsa_system_sgpr_workgroup_id_x 1
		.amdhsa_system_sgpr_workgroup_id_y 0
		.amdhsa_system_sgpr_workgroup_id_z 0
		.amdhsa_system_sgpr_workgroup_info 0
		.amdhsa_system_vgpr_workitem_id 0
		.amdhsa_next_free_vgpr 6
		.amdhsa_next_free_sgpr 13
		.amdhsa_reserve_vcc 1
		.amdhsa_reserve_flat_scratch 0
		.amdhsa_float_round_mode_32 0
		.amdhsa_float_round_mode_16_64 0
		.amdhsa_float_denorm_mode_32 3
		.amdhsa_float_denorm_mode_16_64 3
		.amdhsa_dx10_clamp 1
		.amdhsa_ieee_mode 1
		.amdhsa_fp16_overflow 0
		.amdhsa_exception_fp_ieee_invalid_op 0
		.amdhsa_exception_fp_denorm_src 0
		.amdhsa_exception_fp_ieee_div_zero 0
		.amdhsa_exception_fp_ieee_overflow 0
		.amdhsa_exception_fp_ieee_underflow 0
		.amdhsa_exception_fp_ieee_inexact 0
		.amdhsa_exception_int_div_zero 0
	.end_amdhsa_kernel
	.section	.text._Z6kernelI14exclusive_scaniLj256ELj16ELj100EEvPKT0_PS1_S1_,"axG",@progbits,_Z6kernelI14exclusive_scaniLj256ELj16ELj100EEvPKT0_PS1_S1_,comdat
.Lfunc_end49:
	.size	_Z6kernelI14exclusive_scaniLj256ELj16ELj100EEvPKT0_PS1_S1_, .Lfunc_end49-_Z6kernelI14exclusive_scaniLj256ELj16ELj100EEvPKT0_PS1_S1_
                                        ; -- End function
	.set _Z6kernelI14exclusive_scaniLj256ELj16ELj100EEvPKT0_PS1_S1_.num_vgpr, 6
	.set _Z6kernelI14exclusive_scaniLj256ELj16ELj100EEvPKT0_PS1_S1_.num_agpr, 0
	.set _Z6kernelI14exclusive_scaniLj256ELj16ELj100EEvPKT0_PS1_S1_.numbered_sgpr, 13
	.set _Z6kernelI14exclusive_scaniLj256ELj16ELj100EEvPKT0_PS1_S1_.num_named_barrier, 0
	.set _Z6kernelI14exclusive_scaniLj256ELj16ELj100EEvPKT0_PS1_S1_.private_seg_size, 0
	.set _Z6kernelI14exclusive_scaniLj256ELj16ELj100EEvPKT0_PS1_S1_.uses_vcc, 1
	.set _Z6kernelI14exclusive_scaniLj256ELj16ELj100EEvPKT0_PS1_S1_.uses_flat_scratch, 0
	.set _Z6kernelI14exclusive_scaniLj256ELj16ELj100EEvPKT0_PS1_S1_.has_dyn_sized_stack, 0
	.set _Z6kernelI14exclusive_scaniLj256ELj16ELj100EEvPKT0_PS1_S1_.has_recursion, 0
	.set _Z6kernelI14exclusive_scaniLj256ELj16ELj100EEvPKT0_PS1_S1_.has_indirect_call, 0
	.section	.AMDGPU.csdata,"",@progbits
; Kernel info:
; codeLenInByte = 312
; TotalNumSgprs: 17
; NumVgprs: 6
; ScratchSize: 0
; MemoryBound: 0
; FloatMode: 240
; IeeeMode: 1
; LDSByteSize: 0 bytes/workgroup (compile time only)
; SGPRBlocks: 2
; VGPRBlocks: 1
; NumSGPRsForWavesPerEU: 17
; NumVGPRsForWavesPerEU: 6
; Occupancy: 10
; WaveLimiterHint : 0
; COMPUTE_PGM_RSRC2:SCRATCH_EN: 0
; COMPUTE_PGM_RSRC2:USER_SGPR: 6
; COMPUTE_PGM_RSRC2:TRAP_HANDLER: 0
; COMPUTE_PGM_RSRC2:TGID_X_EN: 1
; COMPUTE_PGM_RSRC2:TGID_Y_EN: 0
; COMPUTE_PGM_RSRC2:TGID_Z_EN: 0
; COMPUTE_PGM_RSRC2:TIDIG_COMP_CNT: 0
	.section	.text._Z6kernelI14exclusive_scaniLj62ELj31ELj100EEvPKT0_PS1_S1_,"axG",@progbits,_Z6kernelI14exclusive_scaniLj62ELj31ELj100EEvPKT0_PS1_S1_,comdat
	.protected	_Z6kernelI14exclusive_scaniLj62ELj31ELj100EEvPKT0_PS1_S1_ ; -- Begin function _Z6kernelI14exclusive_scaniLj62ELj31ELj100EEvPKT0_PS1_S1_
	.globl	_Z6kernelI14exclusive_scaniLj62ELj31ELj100EEvPKT0_PS1_S1_
	.p2align	8
	.type	_Z6kernelI14exclusive_scaniLj62ELj31ELj100EEvPKT0_PS1_S1_,@function
_Z6kernelI14exclusive_scaniLj62ELj31ELj100EEvPKT0_PS1_S1_: ; @_Z6kernelI14exclusive_scaniLj62ELj31ELj100EEvPKT0_PS1_S1_
; %bb.0:
	s_load_dword s0, s[4:5], 0x24
	s_load_dwordx4 s[8:11], s[4:5], 0x0
	s_load_dword s12, s[4:5], 0x10
	v_mov_b32_e32 v1, 0
	s_movk_i32 s13, 0x64
	s_waitcnt lgkmcnt(0)
	s_and_b32 s0, s0, 0xffff
	s_mul_i32 s6, s6, s0
	v_add_u32_e32 v0, s6, v0
	v_lshlrev_b64 v[0:1], 2, v[0:1]
	v_mov_b32_e32 v3, s9
	v_add_co_u32_e32 v2, vcc, s8, v0
	v_addc_co_u32_e32 v3, vcc, v3, v1, vcc
	global_load_dword v2, v[2:3], off
	v_mbcnt_lo_u32_b32 v3, -1, 0
	v_mbcnt_hi_u32_b32 v3, -1, v3
	s_mov_b32 s0, 0x8421085
	v_mul_hi_u32 v4, v3, s0
	v_mul_u32_u24_e32 v4, 31, v4
	v_sub_u32_e32 v4, v3, v4
	v_lshlrev_b32_e32 v3, 2, v4
	v_cmp_ne_u32_e32 vcc, 0, v4
	v_cmp_lt_u32_e64 s[0:1], 1, v4
	v_cmp_lt_u32_e64 s[2:3], 3, v4
	v_cmp_lt_u32_e64 s[4:5], 7, v4
	v_cmp_lt_u32_e64 s[6:7], 15, v4
	v_add_u32_e32 v4, -4, v3
	v_add_u32_e32 v5, -8, v3
	;; [unrolled: 1-line block ×3, first 2 shown]
	v_subrev_u32_e32 v7, 32, v3
	v_subrev_u32_e32 v8, 64, v3
	s_branch .LBB50_2
.LBB50_1:                               ;   in Loop: Header=BB50_2 Depth=1
	s_or_b64 exec, exec, s[8:9]
	s_add_i32 s13, s13, -1
	s_cmp_lg_u32 s13, 0
	s_cbranch_scc0 .LBB50_24
.LBB50_2:                               ; =>This Inner Loop Header: Depth=1
	s_waitcnt vmcnt(0)
	ds_write_b32 v3, v2
	; wave barrier
	s_and_saveexec_b64 s[8:9], vcc
	s_cbranch_execz .LBB50_4
; %bb.3:                                ;   in Loop: Header=BB50_2 Depth=1
	ds_read_b32 v9, v4
	s_waitcnt lgkmcnt(0)
	v_add_u32_e32 v2, v9, v2
.LBB50_4:                               ;   in Loop: Header=BB50_2 Depth=1
	s_or_b64 exec, exec, s[8:9]
	; wave barrier
	s_and_saveexec_b64 s[8:9], vcc
; %bb.5:                                ;   in Loop: Header=BB50_2 Depth=1
	ds_write_b32 v3, v2
; %bb.6:                                ;   in Loop: Header=BB50_2 Depth=1
	s_or_b64 exec, exec, s[8:9]
	; wave barrier
	s_and_saveexec_b64 s[8:9], s[0:1]
	s_cbranch_execz .LBB50_8
; %bb.7:                                ;   in Loop: Header=BB50_2 Depth=1
	ds_read_b32 v9, v5
	s_waitcnt lgkmcnt(0)
	v_add_u32_e32 v2, v9, v2
.LBB50_8:                               ;   in Loop: Header=BB50_2 Depth=1
	s_or_b64 exec, exec, s[8:9]
	; wave barrier
	s_and_saveexec_b64 s[8:9], s[0:1]
; %bb.9:                                ;   in Loop: Header=BB50_2 Depth=1
	ds_write_b32 v3, v2
; %bb.10:                               ;   in Loop: Header=BB50_2 Depth=1
	s_or_b64 exec, exec, s[8:9]
	; wave barrier
	s_and_saveexec_b64 s[8:9], s[2:3]
	s_cbranch_execz .LBB50_12
; %bb.11:                               ;   in Loop: Header=BB50_2 Depth=1
	ds_read_b32 v9, v6
	s_waitcnt lgkmcnt(0)
	v_add_u32_e32 v2, v9, v2
.LBB50_12:                              ;   in Loop: Header=BB50_2 Depth=1
	s_or_b64 exec, exec, s[8:9]
	; wave barrier
	s_and_saveexec_b64 s[8:9], s[2:3]
; %bb.13:                               ;   in Loop: Header=BB50_2 Depth=1
	ds_write_b32 v3, v2
; %bb.14:                               ;   in Loop: Header=BB50_2 Depth=1
	s_or_b64 exec, exec, s[8:9]
	; wave barrier
	s_and_saveexec_b64 s[8:9], s[4:5]
	s_cbranch_execz .LBB50_16
; %bb.15:                               ;   in Loop: Header=BB50_2 Depth=1
	ds_read_b32 v9, v7
	s_waitcnt lgkmcnt(0)
	v_add_u32_e32 v2, v9, v2
.LBB50_16:                              ;   in Loop: Header=BB50_2 Depth=1
	s_or_b64 exec, exec, s[8:9]
	; wave barrier
	s_and_saveexec_b64 s[8:9], s[4:5]
; %bb.17:                               ;   in Loop: Header=BB50_2 Depth=1
	;; [unrolled: 15-line block ×3, first 2 shown]
	ds_write_b32 v3, v2
; %bb.22:                               ;   in Loop: Header=BB50_2 Depth=1
	s_or_b64 exec, exec, s[8:9]
	v_mov_b32_e32 v2, s12
	; wave barrier
	s_and_saveexec_b64 s[8:9], vcc
	s_cbranch_execz .LBB50_1
; %bb.23:                               ;   in Loop: Header=BB50_2 Depth=1
	ds_read_b32 v2, v4
	s_waitcnt lgkmcnt(0)
	v_add_u32_e32 v2, s12, v2
	s_branch .LBB50_1
.LBB50_24:
	v_mov_b32_e32 v3, s11
	v_add_co_u32_e32 v0, vcc, s10, v0
	v_addc_co_u32_e32 v1, vcc, v3, v1, vcc
	global_store_dword v[0:1], v2, off
	s_endpgm
	.section	.rodata,"a",@progbits
	.p2align	6, 0x0
	.amdhsa_kernel _Z6kernelI14exclusive_scaniLj62ELj31ELj100EEvPKT0_PS1_S1_
		.amdhsa_group_segment_fixed_size 124
		.amdhsa_private_segment_fixed_size 0
		.amdhsa_kernarg_size 280
		.amdhsa_user_sgpr_count 6
		.amdhsa_user_sgpr_private_segment_buffer 1
		.amdhsa_user_sgpr_dispatch_ptr 0
		.amdhsa_user_sgpr_queue_ptr 0
		.amdhsa_user_sgpr_kernarg_segment_ptr 1
		.amdhsa_user_sgpr_dispatch_id 0
		.amdhsa_user_sgpr_flat_scratch_init 0
		.amdhsa_user_sgpr_private_segment_size 0
		.amdhsa_uses_dynamic_stack 0
		.amdhsa_system_sgpr_private_segment_wavefront_offset 0
		.amdhsa_system_sgpr_workgroup_id_x 1
		.amdhsa_system_sgpr_workgroup_id_y 0
		.amdhsa_system_sgpr_workgroup_id_z 0
		.amdhsa_system_sgpr_workgroup_info 0
		.amdhsa_system_vgpr_workitem_id 0
		.amdhsa_next_free_vgpr 10
		.amdhsa_next_free_sgpr 14
		.amdhsa_reserve_vcc 1
		.amdhsa_reserve_flat_scratch 0
		.amdhsa_float_round_mode_32 0
		.amdhsa_float_round_mode_16_64 0
		.amdhsa_float_denorm_mode_32 3
		.amdhsa_float_denorm_mode_16_64 3
		.amdhsa_dx10_clamp 1
		.amdhsa_ieee_mode 1
		.amdhsa_fp16_overflow 0
		.amdhsa_exception_fp_ieee_invalid_op 0
		.amdhsa_exception_fp_denorm_src 0
		.amdhsa_exception_fp_ieee_div_zero 0
		.amdhsa_exception_fp_ieee_overflow 0
		.amdhsa_exception_fp_ieee_underflow 0
		.amdhsa_exception_fp_ieee_inexact 0
		.amdhsa_exception_int_div_zero 0
	.end_amdhsa_kernel
	.section	.text._Z6kernelI14exclusive_scaniLj62ELj31ELj100EEvPKT0_PS1_S1_,"axG",@progbits,_Z6kernelI14exclusive_scaniLj62ELj31ELj100EEvPKT0_PS1_S1_,comdat
.Lfunc_end50:
	.size	_Z6kernelI14exclusive_scaniLj62ELj31ELj100EEvPKT0_PS1_S1_, .Lfunc_end50-_Z6kernelI14exclusive_scaniLj62ELj31ELj100EEvPKT0_PS1_S1_
                                        ; -- End function
	.set _Z6kernelI14exclusive_scaniLj62ELj31ELj100EEvPKT0_PS1_S1_.num_vgpr, 10
	.set _Z6kernelI14exclusive_scaniLj62ELj31ELj100EEvPKT0_PS1_S1_.num_agpr, 0
	.set _Z6kernelI14exclusive_scaniLj62ELj31ELj100EEvPKT0_PS1_S1_.numbered_sgpr, 14
	.set _Z6kernelI14exclusive_scaniLj62ELj31ELj100EEvPKT0_PS1_S1_.num_named_barrier, 0
	.set _Z6kernelI14exclusive_scaniLj62ELj31ELj100EEvPKT0_PS1_S1_.private_seg_size, 0
	.set _Z6kernelI14exclusive_scaniLj62ELj31ELj100EEvPKT0_PS1_S1_.uses_vcc, 1
	.set _Z6kernelI14exclusive_scaniLj62ELj31ELj100EEvPKT0_PS1_S1_.uses_flat_scratch, 0
	.set _Z6kernelI14exclusive_scaniLj62ELj31ELj100EEvPKT0_PS1_S1_.has_dyn_sized_stack, 0
	.set _Z6kernelI14exclusive_scaniLj62ELj31ELj100EEvPKT0_PS1_S1_.has_recursion, 0
	.set _Z6kernelI14exclusive_scaniLj62ELj31ELj100EEvPKT0_PS1_S1_.has_indirect_call, 0
	.section	.AMDGPU.csdata,"",@progbits
; Kernel info:
; codeLenInByte = 488
; TotalNumSgprs: 18
; NumVgprs: 10
; ScratchSize: 0
; MemoryBound: 0
; FloatMode: 240
; IeeeMode: 1
; LDSByteSize: 124 bytes/workgroup (compile time only)
; SGPRBlocks: 2
; VGPRBlocks: 2
; NumSGPRsForWavesPerEU: 18
; NumVGPRsForWavesPerEU: 10
; Occupancy: 10
; WaveLimiterHint : 0
; COMPUTE_PGM_RSRC2:SCRATCH_EN: 0
; COMPUTE_PGM_RSRC2:USER_SGPR: 6
; COMPUTE_PGM_RSRC2:TRAP_HANDLER: 0
; COMPUTE_PGM_RSRC2:TGID_X_EN: 1
; COMPUTE_PGM_RSRC2:TGID_Y_EN: 0
; COMPUTE_PGM_RSRC2:TGID_Z_EN: 0
; COMPUTE_PGM_RSRC2:TIDIG_COMP_CNT: 0
	.section	.text._Z6kernelI14exclusive_scaniLj256ELj32ELj100EEvPKT0_PS1_S1_,"axG",@progbits,_Z6kernelI14exclusive_scaniLj256ELj32ELj100EEvPKT0_PS1_S1_,comdat
	.protected	_Z6kernelI14exclusive_scaniLj256ELj32ELj100EEvPKT0_PS1_S1_ ; -- Begin function _Z6kernelI14exclusive_scaniLj256ELj32ELj100EEvPKT0_PS1_S1_
	.globl	_Z6kernelI14exclusive_scaniLj256ELj32ELj100EEvPKT0_PS1_S1_
	.p2align	8
	.type	_Z6kernelI14exclusive_scaniLj256ELj32ELj100EEvPKT0_PS1_S1_,@function
_Z6kernelI14exclusive_scaniLj256ELj32ELj100EEvPKT0_PS1_S1_: ; @_Z6kernelI14exclusive_scaniLj256ELj32ELj100EEvPKT0_PS1_S1_
; %bb.0:
	s_load_dword s0, s[4:5], 0x24
	s_load_dwordx4 s[8:11], s[4:5], 0x0
	s_load_dword s12, s[4:5], 0x10
	v_mov_b32_e32 v1, 0
	s_movk_i32 s13, 0x64
	s_waitcnt lgkmcnt(0)
	s_and_b32 s0, s0, 0xffff
	s_mul_i32 s6, s6, s0
	v_add_u32_e32 v0, s6, v0
	v_lshlrev_b64 v[0:1], 2, v[0:1]
	v_mov_b32_e32 v3, s9
	v_add_co_u32_e32 v2, vcc, s8, v0
	v_addc_co_u32_e32 v3, vcc, v3, v1, vcc
	global_load_dword v2, v[2:3], off
	v_mbcnt_lo_u32_b32 v3, -1, 0
	v_mbcnt_hi_u32_b32 v4, -1, v3
	v_and_b32_e32 v3, 15, v4
	v_cmp_eq_u32_e32 vcc, 0, v3
	v_cmp_lt_u32_e64 s[0:1], 1, v3
	v_cmp_lt_u32_e64 s[2:3], 3, v3
	;; [unrolled: 1-line block ×3, first 2 shown]
	v_and_b32_e32 v3, 16, v4
	v_cmp_eq_u32_e64 s[6:7], 0, v3
	v_add_u32_e32 v3, -1, v4
	v_and_b32_e32 v5, 0x60, v4
	v_cmp_lt_i32_e64 s[8:9], v3, v5
	v_cndmask_b32_e64 v3, v3, v4, s[8:9]
	v_and_b32_e32 v4, 31, v4
	v_lshlrev_b32_e32 v3, 2, v3
	v_cmp_eq_u32_e64 s[8:9], 0, v4
	v_mov_b32_e32 v4, s12
.LBB51_1:                               ; =>This Inner Loop Header: Depth=1
	s_waitcnt vmcnt(0)
	v_mov_b32_dpp v5, v2 row_shr:1 row_mask:0xf bank_mask:0xf
	v_cndmask_b32_e64 v5, v5, 0, vcc
	v_add_u32_e32 v2, v5, v2
	s_add_i32 s13, s13, -1
	s_cmp_lg_u32 s13, 0
	v_mov_b32_dpp v5, v2 row_shr:2 row_mask:0xf bank_mask:0xf
	v_cndmask_b32_e64 v5, 0, v5, s[0:1]
	v_add_u32_e32 v2, v2, v5
	s_nop 1
	v_mov_b32_dpp v5, v2 row_shr:4 row_mask:0xf bank_mask:0xf
	v_cndmask_b32_e64 v5, 0, v5, s[2:3]
	v_add_u32_e32 v2, v2, v5
	s_nop 1
	;; [unrolled: 4-line block ×3, first 2 shown]
	v_mov_b32_dpp v5, v2 row_bcast:15 row_mask:0xf bank_mask:0xf
	v_cndmask_b32_e64 v5, v5, 0, s[6:7]
	v_add3_u32 v2, v5, s12, v2
	ds_bpermute_b32 v2, v3, v2
	s_waitcnt lgkmcnt(0)
	v_cndmask_b32_e64 v2, v2, v4, s[8:9]
	s_cbranch_scc1 .LBB51_1
; %bb.2:
	v_mov_b32_e32 v3, s11
	v_add_co_u32_e32 v0, vcc, s10, v0
	v_addc_co_u32_e32 v1, vcc, v3, v1, vcc
	global_store_dword v[0:1], v2, off
	s_endpgm
	.section	.rodata,"a",@progbits
	.p2align	6, 0x0
	.amdhsa_kernel _Z6kernelI14exclusive_scaniLj256ELj32ELj100EEvPKT0_PS1_S1_
		.amdhsa_group_segment_fixed_size 0
		.amdhsa_private_segment_fixed_size 0
		.amdhsa_kernarg_size 280
		.amdhsa_user_sgpr_count 6
		.amdhsa_user_sgpr_private_segment_buffer 1
		.amdhsa_user_sgpr_dispatch_ptr 0
		.amdhsa_user_sgpr_queue_ptr 0
		.amdhsa_user_sgpr_kernarg_segment_ptr 1
		.amdhsa_user_sgpr_dispatch_id 0
		.amdhsa_user_sgpr_flat_scratch_init 0
		.amdhsa_user_sgpr_private_segment_size 0
		.amdhsa_uses_dynamic_stack 0
		.amdhsa_system_sgpr_private_segment_wavefront_offset 0
		.amdhsa_system_sgpr_workgroup_id_x 1
		.amdhsa_system_sgpr_workgroup_id_y 0
		.amdhsa_system_sgpr_workgroup_id_z 0
		.amdhsa_system_sgpr_workgroup_info 0
		.amdhsa_system_vgpr_workitem_id 0
		.amdhsa_next_free_vgpr 6
		.amdhsa_next_free_sgpr 14
		.amdhsa_reserve_vcc 1
		.amdhsa_reserve_flat_scratch 0
		.amdhsa_float_round_mode_32 0
		.amdhsa_float_round_mode_16_64 0
		.amdhsa_float_denorm_mode_32 3
		.amdhsa_float_denorm_mode_16_64 3
		.amdhsa_dx10_clamp 1
		.amdhsa_ieee_mode 1
		.amdhsa_fp16_overflow 0
		.amdhsa_exception_fp_ieee_invalid_op 0
		.amdhsa_exception_fp_denorm_src 0
		.amdhsa_exception_fp_ieee_div_zero 0
		.amdhsa_exception_fp_ieee_overflow 0
		.amdhsa_exception_fp_ieee_underflow 0
		.amdhsa_exception_fp_ieee_inexact 0
		.amdhsa_exception_int_div_zero 0
	.end_amdhsa_kernel
	.section	.text._Z6kernelI14exclusive_scaniLj256ELj32ELj100EEvPKT0_PS1_S1_,"axG",@progbits,_Z6kernelI14exclusive_scaniLj256ELj32ELj100EEvPKT0_PS1_S1_,comdat
.Lfunc_end51:
	.size	_Z6kernelI14exclusive_scaniLj256ELj32ELj100EEvPKT0_PS1_S1_, .Lfunc_end51-_Z6kernelI14exclusive_scaniLj256ELj32ELj100EEvPKT0_PS1_S1_
                                        ; -- End function
	.set _Z6kernelI14exclusive_scaniLj256ELj32ELj100EEvPKT0_PS1_S1_.num_vgpr, 6
	.set _Z6kernelI14exclusive_scaniLj256ELj32ELj100EEvPKT0_PS1_S1_.num_agpr, 0
	.set _Z6kernelI14exclusive_scaniLj256ELj32ELj100EEvPKT0_PS1_S1_.numbered_sgpr, 14
	.set _Z6kernelI14exclusive_scaniLj256ELj32ELj100EEvPKT0_PS1_S1_.num_named_barrier, 0
	.set _Z6kernelI14exclusive_scaniLj256ELj32ELj100EEvPKT0_PS1_S1_.private_seg_size, 0
	.set _Z6kernelI14exclusive_scaniLj256ELj32ELj100EEvPKT0_PS1_S1_.uses_vcc, 1
	.set _Z6kernelI14exclusive_scaniLj256ELj32ELj100EEvPKT0_PS1_S1_.uses_flat_scratch, 0
	.set _Z6kernelI14exclusive_scaniLj256ELj32ELj100EEvPKT0_PS1_S1_.has_dyn_sized_stack, 0
	.set _Z6kernelI14exclusive_scaniLj256ELj32ELj100EEvPKT0_PS1_S1_.has_recursion, 0
	.set _Z6kernelI14exclusive_scaniLj256ELj32ELj100EEvPKT0_PS1_S1_.has_indirect_call, 0
	.section	.AMDGPU.csdata,"",@progbits
; Kernel info:
; codeLenInByte = 364
; TotalNumSgprs: 18
; NumVgprs: 6
; ScratchSize: 0
; MemoryBound: 0
; FloatMode: 240
; IeeeMode: 1
; LDSByteSize: 0 bytes/workgroup (compile time only)
; SGPRBlocks: 2
; VGPRBlocks: 1
; NumSGPRsForWavesPerEU: 18
; NumVGPRsForWavesPerEU: 6
; Occupancy: 10
; WaveLimiterHint : 0
; COMPUTE_PGM_RSRC2:SCRATCH_EN: 0
; COMPUTE_PGM_RSRC2:USER_SGPR: 6
; COMPUTE_PGM_RSRC2:TRAP_HANDLER: 0
; COMPUTE_PGM_RSRC2:TGID_X_EN: 1
; COMPUTE_PGM_RSRC2:TGID_Y_EN: 0
; COMPUTE_PGM_RSRC2:TGID_Z_EN: 0
; COMPUTE_PGM_RSRC2:TIDIG_COMP_CNT: 0
	.section	.text._Z6kernelI14exclusive_scaniLj63ELj63ELj100EEvPKT0_PS1_S1_,"axG",@progbits,_Z6kernelI14exclusive_scaniLj63ELj63ELj100EEvPKT0_PS1_S1_,comdat
	.protected	_Z6kernelI14exclusive_scaniLj63ELj63ELj100EEvPKT0_PS1_S1_ ; -- Begin function _Z6kernelI14exclusive_scaniLj63ELj63ELj100EEvPKT0_PS1_S1_
	.globl	_Z6kernelI14exclusive_scaniLj63ELj63ELj100EEvPKT0_PS1_S1_
	.p2align	8
	.type	_Z6kernelI14exclusive_scaniLj63ELj63ELj100EEvPKT0_PS1_S1_,@function
_Z6kernelI14exclusive_scaniLj63ELj63ELj100EEvPKT0_PS1_S1_: ; @_Z6kernelI14exclusive_scaniLj63ELj63ELj100EEvPKT0_PS1_S1_
; %bb.0:
	s_load_dword s0, s[4:5], 0x24
	s_load_dwordx4 s[8:11], s[4:5], 0x0
	s_load_dword s14, s[4:5], 0x10
	v_mov_b32_e32 v1, 0
	s_movk_i32 s15, 0x64
	s_waitcnt lgkmcnt(0)
	s_and_b32 s0, s0, 0xffff
	s_mul_i32 s6, s6, s0
	v_add_u32_e32 v0, s6, v0
	v_lshlrev_b64 v[0:1], 2, v[0:1]
	v_mov_b32_e32 v3, s9
	v_add_co_u32_e32 v2, vcc, s8, v0
	v_addc_co_u32_e32 v3, vcc, v3, v1, vcc
	global_load_dword v2, v[2:3], off
	v_mbcnt_lo_u32_b32 v3, -1, 0
	v_mbcnt_hi_u32_b32 v3, -1, v3
	s_mov_b32 s0, 0x4104105
	v_mul_hi_u32 v4, v3, s0
	v_mul_u32_u24_e32 v4, 63, v4
	v_sub_u32_e32 v4, v3, v4
	v_lshlrev_b32_e32 v3, 2, v4
	v_cmp_ne_u32_e32 vcc, 0, v4
	v_cmp_lt_u32_e64 s[0:1], 1, v4
	v_cmp_lt_u32_e64 s[2:3], 3, v4
	v_cmp_lt_u32_e64 s[4:5], 7, v4
	v_cmp_lt_u32_e64 s[6:7], 15, v4
	v_cmp_lt_u32_e64 s[8:9], 31, v4
	v_add_u32_e32 v4, -4, v3
	v_add_u32_e32 v5, -8, v3
	;; [unrolled: 1-line block ×3, first 2 shown]
	v_subrev_u32_e32 v7, 32, v3
	v_subrev_u32_e32 v8, 64, v3
	v_add_u32_e32 v9, 0xffffff80, v3
	s_branch .LBB52_2
.LBB52_1:                               ;   in Loop: Header=BB52_2 Depth=1
	s_or_b64 exec, exec, s[12:13]
	s_add_i32 s15, s15, -1
	s_cmp_lg_u32 s15, 0
	s_cbranch_scc0 .LBB52_28
.LBB52_2:                               ; =>This Inner Loop Header: Depth=1
	s_waitcnt vmcnt(0)
	ds_write_b32 v3, v2
	; wave barrier
	s_and_saveexec_b64 s[12:13], vcc
	s_cbranch_execz .LBB52_4
; %bb.3:                                ;   in Loop: Header=BB52_2 Depth=1
	ds_read_b32 v10, v4
	s_waitcnt lgkmcnt(0)
	v_add_u32_e32 v2, v10, v2
.LBB52_4:                               ;   in Loop: Header=BB52_2 Depth=1
	s_or_b64 exec, exec, s[12:13]
	; wave barrier
	s_and_saveexec_b64 s[12:13], vcc
; %bb.5:                                ;   in Loop: Header=BB52_2 Depth=1
	ds_write_b32 v3, v2
; %bb.6:                                ;   in Loop: Header=BB52_2 Depth=1
	s_or_b64 exec, exec, s[12:13]
	; wave barrier
	s_and_saveexec_b64 s[12:13], s[0:1]
	s_cbranch_execz .LBB52_8
; %bb.7:                                ;   in Loop: Header=BB52_2 Depth=1
	ds_read_b32 v10, v5
	s_waitcnt lgkmcnt(0)
	v_add_u32_e32 v2, v10, v2
.LBB52_8:                               ;   in Loop: Header=BB52_2 Depth=1
	s_or_b64 exec, exec, s[12:13]
	; wave barrier
	s_and_saveexec_b64 s[12:13], s[0:1]
; %bb.9:                                ;   in Loop: Header=BB52_2 Depth=1
	ds_write_b32 v3, v2
; %bb.10:                               ;   in Loop: Header=BB52_2 Depth=1
	s_or_b64 exec, exec, s[12:13]
	; wave barrier
	s_and_saveexec_b64 s[12:13], s[2:3]
	s_cbranch_execz .LBB52_12
; %bb.11:                               ;   in Loop: Header=BB52_2 Depth=1
	ds_read_b32 v10, v6
	s_waitcnt lgkmcnt(0)
	v_add_u32_e32 v2, v10, v2
.LBB52_12:                              ;   in Loop: Header=BB52_2 Depth=1
	s_or_b64 exec, exec, s[12:13]
	; wave barrier
	s_and_saveexec_b64 s[12:13], s[2:3]
; %bb.13:                               ;   in Loop: Header=BB52_2 Depth=1
	ds_write_b32 v3, v2
; %bb.14:                               ;   in Loop: Header=BB52_2 Depth=1
	s_or_b64 exec, exec, s[12:13]
	; wave barrier
	s_and_saveexec_b64 s[12:13], s[4:5]
	s_cbranch_execz .LBB52_16
; %bb.15:                               ;   in Loop: Header=BB52_2 Depth=1
	ds_read_b32 v10, v7
	s_waitcnt lgkmcnt(0)
	v_add_u32_e32 v2, v10, v2
.LBB52_16:                              ;   in Loop: Header=BB52_2 Depth=1
	s_or_b64 exec, exec, s[12:13]
	; wave barrier
	s_and_saveexec_b64 s[12:13], s[4:5]
; %bb.17:                               ;   in Loop: Header=BB52_2 Depth=1
	;; [unrolled: 15-line block ×4, first 2 shown]
	ds_write_b32 v3, v2
; %bb.26:                               ;   in Loop: Header=BB52_2 Depth=1
	s_or_b64 exec, exec, s[12:13]
	v_mov_b32_e32 v2, s14
	; wave barrier
	s_and_saveexec_b64 s[12:13], vcc
	s_cbranch_execz .LBB52_1
; %bb.27:                               ;   in Loop: Header=BB52_2 Depth=1
	ds_read_b32 v2, v4
	s_waitcnt lgkmcnt(0)
	v_add_u32_e32 v2, s14, v2
	s_branch .LBB52_1
.LBB52_28:
	v_mov_b32_e32 v3, s11
	v_add_co_u32_e32 v0, vcc, s10, v0
	v_addc_co_u32_e32 v1, vcc, v3, v1, vcc
	global_store_dword v[0:1], v2, off
	s_endpgm
	.section	.rodata,"a",@progbits
	.p2align	6, 0x0
	.amdhsa_kernel _Z6kernelI14exclusive_scaniLj63ELj63ELj100EEvPKT0_PS1_S1_
		.amdhsa_group_segment_fixed_size 252
		.amdhsa_private_segment_fixed_size 0
		.amdhsa_kernarg_size 280
		.amdhsa_user_sgpr_count 6
		.amdhsa_user_sgpr_private_segment_buffer 1
		.amdhsa_user_sgpr_dispatch_ptr 0
		.amdhsa_user_sgpr_queue_ptr 0
		.amdhsa_user_sgpr_kernarg_segment_ptr 1
		.amdhsa_user_sgpr_dispatch_id 0
		.amdhsa_user_sgpr_flat_scratch_init 0
		.amdhsa_user_sgpr_private_segment_size 0
		.amdhsa_uses_dynamic_stack 0
		.amdhsa_system_sgpr_private_segment_wavefront_offset 0
		.amdhsa_system_sgpr_workgroup_id_x 1
		.amdhsa_system_sgpr_workgroup_id_y 0
		.amdhsa_system_sgpr_workgroup_id_z 0
		.amdhsa_system_sgpr_workgroup_info 0
		.amdhsa_system_vgpr_workitem_id 0
		.amdhsa_next_free_vgpr 11
		.amdhsa_next_free_sgpr 16
		.amdhsa_reserve_vcc 1
		.amdhsa_reserve_flat_scratch 0
		.amdhsa_float_round_mode_32 0
		.amdhsa_float_round_mode_16_64 0
		.amdhsa_float_denorm_mode_32 3
		.amdhsa_float_denorm_mode_16_64 3
		.amdhsa_dx10_clamp 1
		.amdhsa_ieee_mode 1
		.amdhsa_fp16_overflow 0
		.amdhsa_exception_fp_ieee_invalid_op 0
		.amdhsa_exception_fp_denorm_src 0
		.amdhsa_exception_fp_ieee_div_zero 0
		.amdhsa_exception_fp_ieee_overflow 0
		.amdhsa_exception_fp_ieee_underflow 0
		.amdhsa_exception_fp_ieee_inexact 0
		.amdhsa_exception_int_div_zero 0
	.end_amdhsa_kernel
	.section	.text._Z6kernelI14exclusive_scaniLj63ELj63ELj100EEvPKT0_PS1_S1_,"axG",@progbits,_Z6kernelI14exclusive_scaniLj63ELj63ELj100EEvPKT0_PS1_S1_,comdat
.Lfunc_end52:
	.size	_Z6kernelI14exclusive_scaniLj63ELj63ELj100EEvPKT0_PS1_S1_, .Lfunc_end52-_Z6kernelI14exclusive_scaniLj63ELj63ELj100EEvPKT0_PS1_S1_
                                        ; -- End function
	.set _Z6kernelI14exclusive_scaniLj63ELj63ELj100EEvPKT0_PS1_S1_.num_vgpr, 11
	.set _Z6kernelI14exclusive_scaniLj63ELj63ELj100EEvPKT0_PS1_S1_.num_agpr, 0
	.set _Z6kernelI14exclusive_scaniLj63ELj63ELj100EEvPKT0_PS1_S1_.numbered_sgpr, 16
	.set _Z6kernelI14exclusive_scaniLj63ELj63ELj100EEvPKT0_PS1_S1_.num_named_barrier, 0
	.set _Z6kernelI14exclusive_scaniLj63ELj63ELj100EEvPKT0_PS1_S1_.private_seg_size, 0
	.set _Z6kernelI14exclusive_scaniLj63ELj63ELj100EEvPKT0_PS1_S1_.uses_vcc, 1
	.set _Z6kernelI14exclusive_scaniLj63ELj63ELj100EEvPKT0_PS1_S1_.uses_flat_scratch, 0
	.set _Z6kernelI14exclusive_scaniLj63ELj63ELj100EEvPKT0_PS1_S1_.has_dyn_sized_stack, 0
	.set _Z6kernelI14exclusive_scaniLj63ELj63ELj100EEvPKT0_PS1_S1_.has_recursion, 0
	.set _Z6kernelI14exclusive_scaniLj63ELj63ELj100EEvPKT0_PS1_S1_.has_indirect_call, 0
	.section	.AMDGPU.csdata,"",@progbits
; Kernel info:
; codeLenInByte = 548
; TotalNumSgprs: 20
; NumVgprs: 11
; ScratchSize: 0
; MemoryBound: 0
; FloatMode: 240
; IeeeMode: 1
; LDSByteSize: 252 bytes/workgroup (compile time only)
; SGPRBlocks: 2
; VGPRBlocks: 2
; NumSGPRsForWavesPerEU: 20
; NumVGPRsForWavesPerEU: 11
; Occupancy: 10
; WaveLimiterHint : 0
; COMPUTE_PGM_RSRC2:SCRATCH_EN: 0
; COMPUTE_PGM_RSRC2:USER_SGPR: 6
; COMPUTE_PGM_RSRC2:TRAP_HANDLER: 0
; COMPUTE_PGM_RSRC2:TGID_X_EN: 1
; COMPUTE_PGM_RSRC2:TGID_Y_EN: 0
; COMPUTE_PGM_RSRC2:TGID_Z_EN: 0
; COMPUTE_PGM_RSRC2:TIDIG_COMP_CNT: 0
	.section	.text._Z6kernelI14exclusive_scaniLj64ELj64ELj100EEvPKT0_PS1_S1_,"axG",@progbits,_Z6kernelI14exclusive_scaniLj64ELj64ELj100EEvPKT0_PS1_S1_,comdat
	.protected	_Z6kernelI14exclusive_scaniLj64ELj64ELj100EEvPKT0_PS1_S1_ ; -- Begin function _Z6kernelI14exclusive_scaniLj64ELj64ELj100EEvPKT0_PS1_S1_
	.globl	_Z6kernelI14exclusive_scaniLj64ELj64ELj100EEvPKT0_PS1_S1_
	.p2align	8
	.type	_Z6kernelI14exclusive_scaniLj64ELj64ELj100EEvPKT0_PS1_S1_,@function
_Z6kernelI14exclusive_scaniLj64ELj64ELj100EEvPKT0_PS1_S1_: ; @_Z6kernelI14exclusive_scaniLj64ELj64ELj100EEvPKT0_PS1_S1_
; %bb.0:
	s_load_dword s0, s[4:5], 0x24
	s_load_dwordx4 s[12:15], s[4:5], 0x0
	s_load_dword s16, s[4:5], 0x10
	v_mov_b32_e32 v1, 0
	s_waitcnt lgkmcnt(0)
	s_and_b32 s0, s0, 0xffff
	s_mul_i32 s6, s6, s0
	v_add_u32_e32 v0, s6, v0
	v_lshlrev_b64 v[0:1], 2, v[0:1]
	v_mov_b32_e32 v3, s13
	v_add_co_u32_e32 v2, vcc, s12, v0
	v_addc_co_u32_e32 v3, vcc, v3, v1, vcc
	global_load_dword v2, v[2:3], off
	v_mbcnt_lo_u32_b32 v3, -1, 0
	v_mbcnt_hi_u32_b32 v3, -1, v3
	v_and_b32_e32 v4, 15, v3
	v_cmp_eq_u32_e32 vcc, 0, v4
	v_cmp_lt_u32_e64 s[0:1], 1, v4
	v_cmp_lt_u32_e64 s[2:3], 3, v4
	;; [unrolled: 1-line block ×3, first 2 shown]
	v_and_b32_e32 v4, 16, v3
	v_cmp_eq_u32_e64 s[6:7], 0, v4
	v_subrev_co_u32_e64 v4, s[10:11], 1, v3
	v_and_b32_e32 v5, 64, v3
	v_cmp_lt_i32_e64 s[12:13], v4, v5
	v_cmp_lt_u32_e64 s[8:9], 31, v3
	v_cndmask_b32_e64 v3, v4, v3, s[12:13]
	v_lshlrev_b32_e32 v3, 2, v3
	s_movk_i32 s12, 0x64
	v_mov_b32_e32 v4, s16
.LBB53_1:                               ; =>This Inner Loop Header: Depth=1
	s_waitcnt vmcnt(0)
	v_mov_b32_dpp v5, v2 row_shr:1 row_mask:0xf bank_mask:0xf
	v_cndmask_b32_e64 v5, v5, 0, vcc
	v_add_u32_e32 v2, v5, v2
	s_add_i32 s12, s12, -1
	s_cmp_lg_u32 s12, 0
	v_mov_b32_dpp v5, v2 row_shr:2 row_mask:0xf bank_mask:0xf
	v_cndmask_b32_e64 v5, 0, v5, s[0:1]
	v_add_u32_e32 v2, v2, v5
	s_nop 1
	v_mov_b32_dpp v5, v2 row_shr:4 row_mask:0xf bank_mask:0xf
	v_cndmask_b32_e64 v5, 0, v5, s[2:3]
	v_add_u32_e32 v2, v2, v5
	s_nop 1
	;; [unrolled: 4-line block ×3, first 2 shown]
	v_mov_b32_dpp v5, v2 row_bcast:15 row_mask:0xf bank_mask:0xf
	v_cndmask_b32_e64 v5, v5, 0, s[6:7]
	v_add_u32_e32 v2, v2, v5
	s_nop 1
	v_mov_b32_dpp v5, v2 row_bcast:31 row_mask:0xf bank_mask:0xf
	v_cndmask_b32_e64 v5, 0, v5, s[8:9]
	v_add3_u32 v2, v5, s16, v2
	ds_bpermute_b32 v2, v3, v2
	s_waitcnt lgkmcnt(0)
	v_cndmask_b32_e64 v2, v2, v4, s[10:11]
	s_cbranch_scc1 .LBB53_1
; %bb.2:
	v_mov_b32_e32 v3, s15
	v_add_co_u32_e32 v0, vcc, s14, v0
	v_addc_co_u32_e32 v1, vcc, v3, v1, vcc
	global_store_dword v[0:1], v2, off
	s_endpgm
	.section	.rodata,"a",@progbits
	.p2align	6, 0x0
	.amdhsa_kernel _Z6kernelI14exclusive_scaniLj64ELj64ELj100EEvPKT0_PS1_S1_
		.amdhsa_group_segment_fixed_size 0
		.amdhsa_private_segment_fixed_size 0
		.amdhsa_kernarg_size 280
		.amdhsa_user_sgpr_count 6
		.amdhsa_user_sgpr_private_segment_buffer 1
		.amdhsa_user_sgpr_dispatch_ptr 0
		.amdhsa_user_sgpr_queue_ptr 0
		.amdhsa_user_sgpr_kernarg_segment_ptr 1
		.amdhsa_user_sgpr_dispatch_id 0
		.amdhsa_user_sgpr_flat_scratch_init 0
		.amdhsa_user_sgpr_private_segment_size 0
		.amdhsa_uses_dynamic_stack 0
		.amdhsa_system_sgpr_private_segment_wavefront_offset 0
		.amdhsa_system_sgpr_workgroup_id_x 1
		.amdhsa_system_sgpr_workgroup_id_y 0
		.amdhsa_system_sgpr_workgroup_id_z 0
		.amdhsa_system_sgpr_workgroup_info 0
		.amdhsa_system_vgpr_workitem_id 0
		.amdhsa_next_free_vgpr 6
		.amdhsa_next_free_sgpr 17
		.amdhsa_reserve_vcc 1
		.amdhsa_reserve_flat_scratch 0
		.amdhsa_float_round_mode_32 0
		.amdhsa_float_round_mode_16_64 0
		.amdhsa_float_denorm_mode_32 3
		.amdhsa_float_denorm_mode_16_64 3
		.amdhsa_dx10_clamp 1
		.amdhsa_ieee_mode 1
		.amdhsa_fp16_overflow 0
		.amdhsa_exception_fp_ieee_invalid_op 0
		.amdhsa_exception_fp_denorm_src 0
		.amdhsa_exception_fp_ieee_div_zero 0
		.amdhsa_exception_fp_ieee_overflow 0
		.amdhsa_exception_fp_ieee_underflow 0
		.amdhsa_exception_fp_ieee_inexact 0
		.amdhsa_exception_int_div_zero 0
	.end_amdhsa_kernel
	.section	.text._Z6kernelI14exclusive_scaniLj64ELj64ELj100EEvPKT0_PS1_S1_,"axG",@progbits,_Z6kernelI14exclusive_scaniLj64ELj64ELj100EEvPKT0_PS1_S1_,comdat
.Lfunc_end53:
	.size	_Z6kernelI14exclusive_scaniLj64ELj64ELj100EEvPKT0_PS1_S1_, .Lfunc_end53-_Z6kernelI14exclusive_scaniLj64ELj64ELj100EEvPKT0_PS1_S1_
                                        ; -- End function
	.set _Z6kernelI14exclusive_scaniLj64ELj64ELj100EEvPKT0_PS1_S1_.num_vgpr, 6
	.set _Z6kernelI14exclusive_scaniLj64ELj64ELj100EEvPKT0_PS1_S1_.num_agpr, 0
	.set _Z6kernelI14exclusive_scaniLj64ELj64ELj100EEvPKT0_PS1_S1_.numbered_sgpr, 17
	.set _Z6kernelI14exclusive_scaniLj64ELj64ELj100EEvPKT0_PS1_S1_.num_named_barrier, 0
	.set _Z6kernelI14exclusive_scaniLj64ELj64ELj100EEvPKT0_PS1_S1_.private_seg_size, 0
	.set _Z6kernelI14exclusive_scaniLj64ELj64ELj100EEvPKT0_PS1_S1_.uses_vcc, 1
	.set _Z6kernelI14exclusive_scaniLj64ELj64ELj100EEvPKT0_PS1_S1_.uses_flat_scratch, 0
	.set _Z6kernelI14exclusive_scaniLj64ELj64ELj100EEvPKT0_PS1_S1_.has_dyn_sized_stack, 0
	.set _Z6kernelI14exclusive_scaniLj64ELj64ELj100EEvPKT0_PS1_S1_.has_recursion, 0
	.set _Z6kernelI14exclusive_scaniLj64ELj64ELj100EEvPKT0_PS1_S1_.has_indirect_call, 0
	.section	.AMDGPU.csdata,"",@progbits
; Kernel info:
; codeLenInByte = 384
; TotalNumSgprs: 21
; NumVgprs: 6
; ScratchSize: 0
; MemoryBound: 0
; FloatMode: 240
; IeeeMode: 1
; LDSByteSize: 0 bytes/workgroup (compile time only)
; SGPRBlocks: 2
; VGPRBlocks: 1
; NumSGPRsForWavesPerEU: 21
; NumVGPRsForWavesPerEU: 6
; Occupancy: 10
; WaveLimiterHint : 0
; COMPUTE_PGM_RSRC2:SCRATCH_EN: 0
; COMPUTE_PGM_RSRC2:USER_SGPR: 6
; COMPUTE_PGM_RSRC2:TRAP_HANDLER: 0
; COMPUTE_PGM_RSRC2:TGID_X_EN: 1
; COMPUTE_PGM_RSRC2:TGID_Y_EN: 0
; COMPUTE_PGM_RSRC2:TGID_Z_EN: 0
; COMPUTE_PGM_RSRC2:TIDIG_COMP_CNT: 0
	.section	.text._Z6kernelI14exclusive_scaniLj128ELj64ELj100EEvPKT0_PS1_S1_,"axG",@progbits,_Z6kernelI14exclusive_scaniLj128ELj64ELj100EEvPKT0_PS1_S1_,comdat
	.protected	_Z6kernelI14exclusive_scaniLj128ELj64ELj100EEvPKT0_PS1_S1_ ; -- Begin function _Z6kernelI14exclusive_scaniLj128ELj64ELj100EEvPKT0_PS1_S1_
	.globl	_Z6kernelI14exclusive_scaniLj128ELj64ELj100EEvPKT0_PS1_S1_
	.p2align	8
	.type	_Z6kernelI14exclusive_scaniLj128ELj64ELj100EEvPKT0_PS1_S1_,@function
_Z6kernelI14exclusive_scaniLj128ELj64ELj100EEvPKT0_PS1_S1_: ; @_Z6kernelI14exclusive_scaniLj128ELj64ELj100EEvPKT0_PS1_S1_
; %bb.0:
	s_load_dword s0, s[4:5], 0x24
	s_load_dwordx4 s[12:15], s[4:5], 0x0
	s_load_dword s16, s[4:5], 0x10
	v_mov_b32_e32 v1, 0
	s_waitcnt lgkmcnt(0)
	s_and_b32 s0, s0, 0xffff
	s_mul_i32 s6, s6, s0
	v_add_u32_e32 v0, s6, v0
	v_lshlrev_b64 v[0:1], 2, v[0:1]
	v_mov_b32_e32 v3, s13
	v_add_co_u32_e32 v2, vcc, s12, v0
	v_addc_co_u32_e32 v3, vcc, v3, v1, vcc
	global_load_dword v2, v[2:3], off
	v_mbcnt_lo_u32_b32 v3, -1, 0
	v_mbcnt_hi_u32_b32 v3, -1, v3
	v_and_b32_e32 v4, 15, v3
	v_cmp_eq_u32_e32 vcc, 0, v4
	v_cmp_lt_u32_e64 s[0:1], 1, v4
	v_cmp_lt_u32_e64 s[2:3], 3, v4
	;; [unrolled: 1-line block ×3, first 2 shown]
	v_and_b32_e32 v4, 16, v3
	v_cmp_eq_u32_e64 s[6:7], 0, v4
	v_subrev_co_u32_e64 v4, s[10:11], 1, v3
	v_and_b32_e32 v5, 64, v3
	v_cmp_lt_i32_e64 s[12:13], v4, v5
	v_cmp_lt_u32_e64 s[8:9], 31, v3
	v_cndmask_b32_e64 v3, v4, v3, s[12:13]
	v_lshlrev_b32_e32 v3, 2, v3
	s_movk_i32 s12, 0x64
	v_mov_b32_e32 v4, s16
.LBB54_1:                               ; =>This Inner Loop Header: Depth=1
	s_waitcnt vmcnt(0)
	v_mov_b32_dpp v5, v2 row_shr:1 row_mask:0xf bank_mask:0xf
	v_cndmask_b32_e64 v5, v5, 0, vcc
	v_add_u32_e32 v2, v5, v2
	s_add_i32 s12, s12, -1
	s_cmp_lg_u32 s12, 0
	v_mov_b32_dpp v5, v2 row_shr:2 row_mask:0xf bank_mask:0xf
	v_cndmask_b32_e64 v5, 0, v5, s[0:1]
	v_add_u32_e32 v2, v2, v5
	s_nop 1
	v_mov_b32_dpp v5, v2 row_shr:4 row_mask:0xf bank_mask:0xf
	v_cndmask_b32_e64 v5, 0, v5, s[2:3]
	v_add_u32_e32 v2, v2, v5
	s_nop 1
	;; [unrolled: 4-line block ×3, first 2 shown]
	v_mov_b32_dpp v5, v2 row_bcast:15 row_mask:0xf bank_mask:0xf
	v_cndmask_b32_e64 v5, v5, 0, s[6:7]
	v_add_u32_e32 v2, v2, v5
	s_nop 1
	v_mov_b32_dpp v5, v2 row_bcast:31 row_mask:0xf bank_mask:0xf
	v_cndmask_b32_e64 v5, 0, v5, s[8:9]
	v_add3_u32 v2, v5, s16, v2
	ds_bpermute_b32 v2, v3, v2
	s_waitcnt lgkmcnt(0)
	v_cndmask_b32_e64 v2, v2, v4, s[10:11]
	s_cbranch_scc1 .LBB54_1
; %bb.2:
	v_mov_b32_e32 v3, s15
	v_add_co_u32_e32 v0, vcc, s14, v0
	v_addc_co_u32_e32 v1, vcc, v3, v1, vcc
	global_store_dword v[0:1], v2, off
	s_endpgm
	.section	.rodata,"a",@progbits
	.p2align	6, 0x0
	.amdhsa_kernel _Z6kernelI14exclusive_scaniLj128ELj64ELj100EEvPKT0_PS1_S1_
		.amdhsa_group_segment_fixed_size 0
		.amdhsa_private_segment_fixed_size 0
		.amdhsa_kernarg_size 280
		.amdhsa_user_sgpr_count 6
		.amdhsa_user_sgpr_private_segment_buffer 1
		.amdhsa_user_sgpr_dispatch_ptr 0
		.amdhsa_user_sgpr_queue_ptr 0
		.amdhsa_user_sgpr_kernarg_segment_ptr 1
		.amdhsa_user_sgpr_dispatch_id 0
		.amdhsa_user_sgpr_flat_scratch_init 0
		.amdhsa_user_sgpr_private_segment_size 0
		.amdhsa_uses_dynamic_stack 0
		.amdhsa_system_sgpr_private_segment_wavefront_offset 0
		.amdhsa_system_sgpr_workgroup_id_x 1
		.amdhsa_system_sgpr_workgroup_id_y 0
		.amdhsa_system_sgpr_workgroup_id_z 0
		.amdhsa_system_sgpr_workgroup_info 0
		.amdhsa_system_vgpr_workitem_id 0
		.amdhsa_next_free_vgpr 6
		.amdhsa_next_free_sgpr 17
		.amdhsa_reserve_vcc 1
		.amdhsa_reserve_flat_scratch 0
		.amdhsa_float_round_mode_32 0
		.amdhsa_float_round_mode_16_64 0
		.amdhsa_float_denorm_mode_32 3
		.amdhsa_float_denorm_mode_16_64 3
		.amdhsa_dx10_clamp 1
		.amdhsa_ieee_mode 1
		.amdhsa_fp16_overflow 0
		.amdhsa_exception_fp_ieee_invalid_op 0
		.amdhsa_exception_fp_denorm_src 0
		.amdhsa_exception_fp_ieee_div_zero 0
		.amdhsa_exception_fp_ieee_overflow 0
		.amdhsa_exception_fp_ieee_underflow 0
		.amdhsa_exception_fp_ieee_inexact 0
		.amdhsa_exception_int_div_zero 0
	.end_amdhsa_kernel
	.section	.text._Z6kernelI14exclusive_scaniLj128ELj64ELj100EEvPKT0_PS1_S1_,"axG",@progbits,_Z6kernelI14exclusive_scaniLj128ELj64ELj100EEvPKT0_PS1_S1_,comdat
.Lfunc_end54:
	.size	_Z6kernelI14exclusive_scaniLj128ELj64ELj100EEvPKT0_PS1_S1_, .Lfunc_end54-_Z6kernelI14exclusive_scaniLj128ELj64ELj100EEvPKT0_PS1_S1_
                                        ; -- End function
	.set _Z6kernelI14exclusive_scaniLj128ELj64ELj100EEvPKT0_PS1_S1_.num_vgpr, 6
	.set _Z6kernelI14exclusive_scaniLj128ELj64ELj100EEvPKT0_PS1_S1_.num_agpr, 0
	.set _Z6kernelI14exclusive_scaniLj128ELj64ELj100EEvPKT0_PS1_S1_.numbered_sgpr, 17
	.set _Z6kernelI14exclusive_scaniLj128ELj64ELj100EEvPKT0_PS1_S1_.num_named_barrier, 0
	.set _Z6kernelI14exclusive_scaniLj128ELj64ELj100EEvPKT0_PS1_S1_.private_seg_size, 0
	.set _Z6kernelI14exclusive_scaniLj128ELj64ELj100EEvPKT0_PS1_S1_.uses_vcc, 1
	.set _Z6kernelI14exclusive_scaniLj128ELj64ELj100EEvPKT0_PS1_S1_.uses_flat_scratch, 0
	.set _Z6kernelI14exclusive_scaniLj128ELj64ELj100EEvPKT0_PS1_S1_.has_dyn_sized_stack, 0
	.set _Z6kernelI14exclusive_scaniLj128ELj64ELj100EEvPKT0_PS1_S1_.has_recursion, 0
	.set _Z6kernelI14exclusive_scaniLj128ELj64ELj100EEvPKT0_PS1_S1_.has_indirect_call, 0
	.section	.AMDGPU.csdata,"",@progbits
; Kernel info:
; codeLenInByte = 384
; TotalNumSgprs: 21
; NumVgprs: 6
; ScratchSize: 0
; MemoryBound: 0
; FloatMode: 240
; IeeeMode: 1
; LDSByteSize: 0 bytes/workgroup (compile time only)
; SGPRBlocks: 2
; VGPRBlocks: 1
; NumSGPRsForWavesPerEU: 21
; NumVGPRsForWavesPerEU: 6
; Occupancy: 10
; WaveLimiterHint : 0
; COMPUTE_PGM_RSRC2:SCRATCH_EN: 0
; COMPUTE_PGM_RSRC2:USER_SGPR: 6
; COMPUTE_PGM_RSRC2:TRAP_HANDLER: 0
; COMPUTE_PGM_RSRC2:TGID_X_EN: 1
; COMPUTE_PGM_RSRC2:TGID_Y_EN: 0
; COMPUTE_PGM_RSRC2:TGID_Z_EN: 0
; COMPUTE_PGM_RSRC2:TIDIG_COMP_CNT: 0
	.section	.text._Z6kernelI14exclusive_scaniLj256ELj64ELj100EEvPKT0_PS1_S1_,"axG",@progbits,_Z6kernelI14exclusive_scaniLj256ELj64ELj100EEvPKT0_PS1_S1_,comdat
	.protected	_Z6kernelI14exclusive_scaniLj256ELj64ELj100EEvPKT0_PS1_S1_ ; -- Begin function _Z6kernelI14exclusive_scaniLj256ELj64ELj100EEvPKT0_PS1_S1_
	.globl	_Z6kernelI14exclusive_scaniLj256ELj64ELj100EEvPKT0_PS1_S1_
	.p2align	8
	.type	_Z6kernelI14exclusive_scaniLj256ELj64ELj100EEvPKT0_PS1_S1_,@function
_Z6kernelI14exclusive_scaniLj256ELj64ELj100EEvPKT0_PS1_S1_: ; @_Z6kernelI14exclusive_scaniLj256ELj64ELj100EEvPKT0_PS1_S1_
; %bb.0:
	s_load_dword s0, s[4:5], 0x24
	s_load_dwordx4 s[12:15], s[4:5], 0x0
	s_load_dword s16, s[4:5], 0x10
	v_mov_b32_e32 v1, 0
	s_waitcnt lgkmcnt(0)
	s_and_b32 s0, s0, 0xffff
	s_mul_i32 s6, s6, s0
	v_add_u32_e32 v0, s6, v0
	v_lshlrev_b64 v[0:1], 2, v[0:1]
	v_mov_b32_e32 v3, s13
	v_add_co_u32_e32 v2, vcc, s12, v0
	v_addc_co_u32_e32 v3, vcc, v3, v1, vcc
	global_load_dword v2, v[2:3], off
	v_mbcnt_lo_u32_b32 v3, -1, 0
	v_mbcnt_hi_u32_b32 v3, -1, v3
	v_and_b32_e32 v4, 15, v3
	v_cmp_eq_u32_e32 vcc, 0, v4
	v_cmp_lt_u32_e64 s[0:1], 1, v4
	v_cmp_lt_u32_e64 s[2:3], 3, v4
	;; [unrolled: 1-line block ×3, first 2 shown]
	v_and_b32_e32 v4, 16, v3
	v_cmp_eq_u32_e64 s[6:7], 0, v4
	v_subrev_co_u32_e64 v4, s[10:11], 1, v3
	v_and_b32_e32 v5, 64, v3
	v_cmp_lt_i32_e64 s[12:13], v4, v5
	v_cmp_lt_u32_e64 s[8:9], 31, v3
	v_cndmask_b32_e64 v3, v4, v3, s[12:13]
	v_lshlrev_b32_e32 v3, 2, v3
	s_movk_i32 s12, 0x64
	v_mov_b32_e32 v4, s16
.LBB55_1:                               ; =>This Inner Loop Header: Depth=1
	s_waitcnt vmcnt(0)
	v_mov_b32_dpp v5, v2 row_shr:1 row_mask:0xf bank_mask:0xf
	v_cndmask_b32_e64 v5, v5, 0, vcc
	v_add_u32_e32 v2, v5, v2
	s_add_i32 s12, s12, -1
	s_cmp_lg_u32 s12, 0
	v_mov_b32_dpp v5, v2 row_shr:2 row_mask:0xf bank_mask:0xf
	v_cndmask_b32_e64 v5, 0, v5, s[0:1]
	v_add_u32_e32 v2, v2, v5
	s_nop 1
	v_mov_b32_dpp v5, v2 row_shr:4 row_mask:0xf bank_mask:0xf
	v_cndmask_b32_e64 v5, 0, v5, s[2:3]
	v_add_u32_e32 v2, v2, v5
	s_nop 1
	;; [unrolled: 4-line block ×3, first 2 shown]
	v_mov_b32_dpp v5, v2 row_bcast:15 row_mask:0xf bank_mask:0xf
	v_cndmask_b32_e64 v5, v5, 0, s[6:7]
	v_add_u32_e32 v2, v2, v5
	s_nop 1
	v_mov_b32_dpp v5, v2 row_bcast:31 row_mask:0xf bank_mask:0xf
	v_cndmask_b32_e64 v5, 0, v5, s[8:9]
	v_add3_u32 v2, v5, s16, v2
	ds_bpermute_b32 v2, v3, v2
	s_waitcnt lgkmcnt(0)
	v_cndmask_b32_e64 v2, v2, v4, s[10:11]
	s_cbranch_scc1 .LBB55_1
; %bb.2:
	v_mov_b32_e32 v3, s15
	v_add_co_u32_e32 v0, vcc, s14, v0
	v_addc_co_u32_e32 v1, vcc, v3, v1, vcc
	global_store_dword v[0:1], v2, off
	s_endpgm
	.section	.rodata,"a",@progbits
	.p2align	6, 0x0
	.amdhsa_kernel _Z6kernelI14exclusive_scaniLj256ELj64ELj100EEvPKT0_PS1_S1_
		.amdhsa_group_segment_fixed_size 0
		.amdhsa_private_segment_fixed_size 0
		.amdhsa_kernarg_size 280
		.amdhsa_user_sgpr_count 6
		.amdhsa_user_sgpr_private_segment_buffer 1
		.amdhsa_user_sgpr_dispatch_ptr 0
		.amdhsa_user_sgpr_queue_ptr 0
		.amdhsa_user_sgpr_kernarg_segment_ptr 1
		.amdhsa_user_sgpr_dispatch_id 0
		.amdhsa_user_sgpr_flat_scratch_init 0
		.amdhsa_user_sgpr_private_segment_size 0
		.amdhsa_uses_dynamic_stack 0
		.amdhsa_system_sgpr_private_segment_wavefront_offset 0
		.amdhsa_system_sgpr_workgroup_id_x 1
		.amdhsa_system_sgpr_workgroup_id_y 0
		.amdhsa_system_sgpr_workgroup_id_z 0
		.amdhsa_system_sgpr_workgroup_info 0
		.amdhsa_system_vgpr_workitem_id 0
		.amdhsa_next_free_vgpr 6
		.amdhsa_next_free_sgpr 17
		.amdhsa_reserve_vcc 1
		.amdhsa_reserve_flat_scratch 0
		.amdhsa_float_round_mode_32 0
		.amdhsa_float_round_mode_16_64 0
		.amdhsa_float_denorm_mode_32 3
		.amdhsa_float_denorm_mode_16_64 3
		.amdhsa_dx10_clamp 1
		.amdhsa_ieee_mode 1
		.amdhsa_fp16_overflow 0
		.amdhsa_exception_fp_ieee_invalid_op 0
		.amdhsa_exception_fp_denorm_src 0
		.amdhsa_exception_fp_ieee_div_zero 0
		.amdhsa_exception_fp_ieee_overflow 0
		.amdhsa_exception_fp_ieee_underflow 0
		.amdhsa_exception_fp_ieee_inexact 0
		.amdhsa_exception_int_div_zero 0
	.end_amdhsa_kernel
	.section	.text._Z6kernelI14exclusive_scaniLj256ELj64ELj100EEvPKT0_PS1_S1_,"axG",@progbits,_Z6kernelI14exclusive_scaniLj256ELj64ELj100EEvPKT0_PS1_S1_,comdat
.Lfunc_end55:
	.size	_Z6kernelI14exclusive_scaniLj256ELj64ELj100EEvPKT0_PS1_S1_, .Lfunc_end55-_Z6kernelI14exclusive_scaniLj256ELj64ELj100EEvPKT0_PS1_S1_
                                        ; -- End function
	.set _Z6kernelI14exclusive_scaniLj256ELj64ELj100EEvPKT0_PS1_S1_.num_vgpr, 6
	.set _Z6kernelI14exclusive_scaniLj256ELj64ELj100EEvPKT0_PS1_S1_.num_agpr, 0
	.set _Z6kernelI14exclusive_scaniLj256ELj64ELj100EEvPKT0_PS1_S1_.numbered_sgpr, 17
	.set _Z6kernelI14exclusive_scaniLj256ELj64ELj100EEvPKT0_PS1_S1_.num_named_barrier, 0
	.set _Z6kernelI14exclusive_scaniLj256ELj64ELj100EEvPKT0_PS1_S1_.private_seg_size, 0
	.set _Z6kernelI14exclusive_scaniLj256ELj64ELj100EEvPKT0_PS1_S1_.uses_vcc, 1
	.set _Z6kernelI14exclusive_scaniLj256ELj64ELj100EEvPKT0_PS1_S1_.uses_flat_scratch, 0
	.set _Z6kernelI14exclusive_scaniLj256ELj64ELj100EEvPKT0_PS1_S1_.has_dyn_sized_stack, 0
	.set _Z6kernelI14exclusive_scaniLj256ELj64ELj100EEvPKT0_PS1_S1_.has_recursion, 0
	.set _Z6kernelI14exclusive_scaniLj256ELj64ELj100EEvPKT0_PS1_S1_.has_indirect_call, 0
	.section	.AMDGPU.csdata,"",@progbits
; Kernel info:
; codeLenInByte = 384
; TotalNumSgprs: 21
; NumVgprs: 6
; ScratchSize: 0
; MemoryBound: 0
; FloatMode: 240
; IeeeMode: 1
; LDSByteSize: 0 bytes/workgroup (compile time only)
; SGPRBlocks: 2
; VGPRBlocks: 1
; NumSGPRsForWavesPerEU: 21
; NumVGPRsForWavesPerEU: 6
; Occupancy: 10
; WaveLimiterHint : 0
; COMPUTE_PGM_RSRC2:SCRATCH_EN: 0
; COMPUTE_PGM_RSRC2:USER_SGPR: 6
; COMPUTE_PGM_RSRC2:TRAP_HANDLER: 0
; COMPUTE_PGM_RSRC2:TGID_X_EN: 1
; COMPUTE_PGM_RSRC2:TGID_Y_EN: 0
; COMPUTE_PGM_RSRC2:TGID_Z_EN: 0
; COMPUTE_PGM_RSRC2:TIDIG_COMP_CNT: 0
	.section	.text._Z6kernelI14exclusive_scanfLj60ELj15ELj100EEvPKT0_PS1_S1_,"axG",@progbits,_Z6kernelI14exclusive_scanfLj60ELj15ELj100EEvPKT0_PS1_S1_,comdat
	.protected	_Z6kernelI14exclusive_scanfLj60ELj15ELj100EEvPKT0_PS1_S1_ ; -- Begin function _Z6kernelI14exclusive_scanfLj60ELj15ELj100EEvPKT0_PS1_S1_
	.globl	_Z6kernelI14exclusive_scanfLj60ELj15ELj100EEvPKT0_PS1_S1_
	.p2align	8
	.type	_Z6kernelI14exclusive_scanfLj60ELj15ELj100EEvPKT0_PS1_S1_,@function
_Z6kernelI14exclusive_scanfLj60ELj15ELj100EEvPKT0_PS1_S1_: ; @_Z6kernelI14exclusive_scanfLj60ELj15ELj100EEvPKT0_PS1_S1_
; %bb.0:
	s_load_dword s0, s[4:5], 0x24
	s_load_dwordx4 s[8:11], s[4:5], 0x0
	s_load_dword s12, s[4:5], 0x10
	v_mov_b32_e32 v1, 0
	s_waitcnt lgkmcnt(0)
	s_and_b32 s0, s0, 0xffff
	s_mul_i32 s6, s6, s0
	v_add_u32_e32 v0, s6, v0
	v_lshlrev_b64 v[0:1], 2, v[0:1]
	v_mov_b32_e32 v3, s9
	v_add_co_u32_e32 v2, vcc, s8, v0
	v_addc_co_u32_e32 v3, vcc, v3, v1, vcc
	global_load_dword v2, v[2:3], off
	v_mbcnt_lo_u32_b32 v3, -1, 0
	v_mbcnt_hi_u32_b32 v3, -1, v3
	s_mov_b32 s0, 0x11111112
	v_mul_hi_u32 v4, v3, s0
	s_movk_i32 s8, 0x64
	v_mul_u32_u24_e32 v4, 15, v4
	v_sub_u32_e32 v4, v3, v4
	v_lshlrev_b32_e32 v3, 2, v4
	v_cmp_ne_u32_e32 vcc, 0, v4
	v_cmp_lt_u32_e64 s[0:1], 1, v4
	v_cmp_lt_u32_e64 s[2:3], 3, v4
	;; [unrolled: 1-line block ×3, first 2 shown]
	v_add_u32_e32 v4, -4, v3
	v_add_u32_e32 v5, -8, v3
	;; [unrolled: 1-line block ×3, first 2 shown]
	v_subrev_u32_e32 v7, 32, v3
	s_branch .LBB56_2
.LBB56_1:                               ;   in Loop: Header=BB56_2 Depth=1
	s_or_b64 exec, exec, s[6:7]
	s_add_i32 s8, s8, -1
	s_cmp_lg_u32 s8, 0
	s_cbranch_scc0 .LBB56_20
.LBB56_2:                               ; =>This Inner Loop Header: Depth=1
	s_waitcnt vmcnt(0)
	ds_write_b32 v3, v2
	; wave barrier
	s_and_saveexec_b64 s[6:7], vcc
	s_cbranch_execz .LBB56_4
; %bb.3:                                ;   in Loop: Header=BB56_2 Depth=1
	ds_read_b32 v8, v4
	s_waitcnt lgkmcnt(0)
	v_add_f32_e32 v2, v2, v8
.LBB56_4:                               ;   in Loop: Header=BB56_2 Depth=1
	s_or_b64 exec, exec, s[6:7]
	; wave barrier
	s_and_saveexec_b64 s[6:7], vcc
; %bb.5:                                ;   in Loop: Header=BB56_2 Depth=1
	ds_write_b32 v3, v2
; %bb.6:                                ;   in Loop: Header=BB56_2 Depth=1
	s_or_b64 exec, exec, s[6:7]
	; wave barrier
	s_and_saveexec_b64 s[6:7], s[0:1]
	s_cbranch_execz .LBB56_8
; %bb.7:                                ;   in Loop: Header=BB56_2 Depth=1
	ds_read_b32 v8, v5
	s_waitcnt lgkmcnt(0)
	v_add_f32_e32 v2, v2, v8
.LBB56_8:                               ;   in Loop: Header=BB56_2 Depth=1
	s_or_b64 exec, exec, s[6:7]
	; wave barrier
	s_and_saveexec_b64 s[6:7], s[0:1]
; %bb.9:                                ;   in Loop: Header=BB56_2 Depth=1
	ds_write_b32 v3, v2
; %bb.10:                               ;   in Loop: Header=BB56_2 Depth=1
	s_or_b64 exec, exec, s[6:7]
	; wave barrier
	s_and_saveexec_b64 s[6:7], s[2:3]
	s_cbranch_execz .LBB56_12
; %bb.11:                               ;   in Loop: Header=BB56_2 Depth=1
	ds_read_b32 v8, v6
	s_waitcnt lgkmcnt(0)
	v_add_f32_e32 v2, v2, v8
.LBB56_12:                              ;   in Loop: Header=BB56_2 Depth=1
	s_or_b64 exec, exec, s[6:7]
	; wave barrier
	s_and_saveexec_b64 s[6:7], s[2:3]
; %bb.13:                               ;   in Loop: Header=BB56_2 Depth=1
	ds_write_b32 v3, v2
; %bb.14:                               ;   in Loop: Header=BB56_2 Depth=1
	s_or_b64 exec, exec, s[6:7]
	; wave barrier
	s_and_saveexec_b64 s[6:7], s[4:5]
	s_cbranch_execz .LBB56_16
; %bb.15:                               ;   in Loop: Header=BB56_2 Depth=1
	ds_read_b32 v8, v7
	s_waitcnt lgkmcnt(0)
	v_add_f32_e32 v2, v2, v8
.LBB56_16:                              ;   in Loop: Header=BB56_2 Depth=1
	s_or_b64 exec, exec, s[6:7]
	; wave barrier
	s_and_saveexec_b64 s[6:7], s[4:5]
; %bb.17:                               ;   in Loop: Header=BB56_2 Depth=1
	ds_write_b32 v3, v2
; %bb.18:                               ;   in Loop: Header=BB56_2 Depth=1
	s_or_b64 exec, exec, s[6:7]
	v_mov_b32_e32 v2, s12
	; wave barrier
	s_and_saveexec_b64 s[6:7], vcc
	s_cbranch_execz .LBB56_1
; %bb.19:                               ;   in Loop: Header=BB56_2 Depth=1
	ds_read_b32 v2, v4
	s_waitcnt lgkmcnt(0)
	v_add_f32_e32 v2, s12, v2
	s_branch .LBB56_1
.LBB56_20:
	v_mov_b32_e32 v3, s11
	v_add_co_u32_e32 v0, vcc, s10, v0
	v_addc_co_u32_e32 v1, vcc, v3, v1, vcc
	global_store_dword v[0:1], v2, off
	s_endpgm
	.section	.rodata,"a",@progbits
	.p2align	6, 0x0
	.amdhsa_kernel _Z6kernelI14exclusive_scanfLj60ELj15ELj100EEvPKT0_PS1_S1_
		.amdhsa_group_segment_fixed_size 60
		.amdhsa_private_segment_fixed_size 0
		.amdhsa_kernarg_size 280
		.amdhsa_user_sgpr_count 6
		.amdhsa_user_sgpr_private_segment_buffer 1
		.amdhsa_user_sgpr_dispatch_ptr 0
		.amdhsa_user_sgpr_queue_ptr 0
		.amdhsa_user_sgpr_kernarg_segment_ptr 1
		.amdhsa_user_sgpr_dispatch_id 0
		.amdhsa_user_sgpr_flat_scratch_init 0
		.amdhsa_user_sgpr_private_segment_size 0
		.amdhsa_uses_dynamic_stack 0
		.amdhsa_system_sgpr_private_segment_wavefront_offset 0
		.amdhsa_system_sgpr_workgroup_id_x 1
		.amdhsa_system_sgpr_workgroup_id_y 0
		.amdhsa_system_sgpr_workgroup_id_z 0
		.amdhsa_system_sgpr_workgroup_info 0
		.amdhsa_system_vgpr_workitem_id 0
		.amdhsa_next_free_vgpr 9
		.amdhsa_next_free_sgpr 13
		.amdhsa_reserve_vcc 1
		.amdhsa_reserve_flat_scratch 0
		.amdhsa_float_round_mode_32 0
		.amdhsa_float_round_mode_16_64 0
		.amdhsa_float_denorm_mode_32 3
		.amdhsa_float_denorm_mode_16_64 3
		.amdhsa_dx10_clamp 1
		.amdhsa_ieee_mode 1
		.amdhsa_fp16_overflow 0
		.amdhsa_exception_fp_ieee_invalid_op 0
		.amdhsa_exception_fp_denorm_src 0
		.amdhsa_exception_fp_ieee_div_zero 0
		.amdhsa_exception_fp_ieee_overflow 0
		.amdhsa_exception_fp_ieee_underflow 0
		.amdhsa_exception_fp_ieee_inexact 0
		.amdhsa_exception_int_div_zero 0
	.end_amdhsa_kernel
	.section	.text._Z6kernelI14exclusive_scanfLj60ELj15ELj100EEvPKT0_PS1_S1_,"axG",@progbits,_Z6kernelI14exclusive_scanfLj60ELj15ELj100EEvPKT0_PS1_S1_,comdat
.Lfunc_end56:
	.size	_Z6kernelI14exclusive_scanfLj60ELj15ELj100EEvPKT0_PS1_S1_, .Lfunc_end56-_Z6kernelI14exclusive_scanfLj60ELj15ELj100EEvPKT0_PS1_S1_
                                        ; -- End function
	.set _Z6kernelI14exclusive_scanfLj60ELj15ELj100EEvPKT0_PS1_S1_.num_vgpr, 9
	.set _Z6kernelI14exclusive_scanfLj60ELj15ELj100EEvPKT0_PS1_S1_.num_agpr, 0
	.set _Z6kernelI14exclusive_scanfLj60ELj15ELj100EEvPKT0_PS1_S1_.numbered_sgpr, 13
	.set _Z6kernelI14exclusive_scanfLj60ELj15ELj100EEvPKT0_PS1_S1_.num_named_barrier, 0
	.set _Z6kernelI14exclusive_scanfLj60ELj15ELj100EEvPKT0_PS1_S1_.private_seg_size, 0
	.set _Z6kernelI14exclusive_scanfLj60ELj15ELj100EEvPKT0_PS1_S1_.uses_vcc, 1
	.set _Z6kernelI14exclusive_scanfLj60ELj15ELj100EEvPKT0_PS1_S1_.uses_flat_scratch, 0
	.set _Z6kernelI14exclusive_scanfLj60ELj15ELj100EEvPKT0_PS1_S1_.has_dyn_sized_stack, 0
	.set _Z6kernelI14exclusive_scanfLj60ELj15ELj100EEvPKT0_PS1_S1_.has_recursion, 0
	.set _Z6kernelI14exclusive_scanfLj60ELj15ELj100EEvPKT0_PS1_S1_.has_indirect_call, 0
	.section	.AMDGPU.csdata,"",@progbits
; Kernel info:
; codeLenInByte = 432
; TotalNumSgprs: 17
; NumVgprs: 9
; ScratchSize: 0
; MemoryBound: 0
; FloatMode: 240
; IeeeMode: 1
; LDSByteSize: 60 bytes/workgroup (compile time only)
; SGPRBlocks: 2
; VGPRBlocks: 2
; NumSGPRsForWavesPerEU: 17
; NumVGPRsForWavesPerEU: 9
; Occupancy: 10
; WaveLimiterHint : 0
; COMPUTE_PGM_RSRC2:SCRATCH_EN: 0
; COMPUTE_PGM_RSRC2:USER_SGPR: 6
; COMPUTE_PGM_RSRC2:TRAP_HANDLER: 0
; COMPUTE_PGM_RSRC2:TGID_X_EN: 1
; COMPUTE_PGM_RSRC2:TGID_Y_EN: 0
; COMPUTE_PGM_RSRC2:TGID_Z_EN: 0
; COMPUTE_PGM_RSRC2:TIDIG_COMP_CNT: 0
	.section	.text._Z6kernelI14exclusive_scanfLj256ELj16ELj100EEvPKT0_PS1_S1_,"axG",@progbits,_Z6kernelI14exclusive_scanfLj256ELj16ELj100EEvPKT0_PS1_S1_,comdat
	.protected	_Z6kernelI14exclusive_scanfLj256ELj16ELj100EEvPKT0_PS1_S1_ ; -- Begin function _Z6kernelI14exclusive_scanfLj256ELj16ELj100EEvPKT0_PS1_S1_
	.globl	_Z6kernelI14exclusive_scanfLj256ELj16ELj100EEvPKT0_PS1_S1_
	.p2align	8
	.type	_Z6kernelI14exclusive_scanfLj256ELj16ELj100EEvPKT0_PS1_S1_,@function
_Z6kernelI14exclusive_scanfLj256ELj16ELj100EEvPKT0_PS1_S1_: ; @_Z6kernelI14exclusive_scanfLj256ELj16ELj100EEvPKT0_PS1_S1_
; %bb.0:
	s_load_dword s0, s[4:5], 0x24
	s_load_dwordx4 s[8:11], s[4:5], 0x0
	s_load_dword s12, s[4:5], 0x10
	v_mov_b32_e32 v1, 0
	s_waitcnt lgkmcnt(0)
	s_and_b32 s0, s0, 0xffff
	s_mul_i32 s6, s6, s0
	v_add_u32_e32 v0, s6, v0
	v_lshlrev_b64 v[0:1], 2, v[0:1]
	v_mov_b32_e32 v3, s9
	v_add_co_u32_e32 v2, vcc, s8, v0
	v_addc_co_u32_e32 v3, vcc, v3, v1, vcc
	global_load_dword v2, v[2:3], off
	v_mbcnt_lo_u32_b32 v3, -1, 0
	v_mbcnt_hi_u32_b32 v3, -1, v3
	v_and_b32_e32 v4, 15, v3
	v_cmp_eq_u32_e32 vcc, 0, v4
	v_cmp_lt_u32_e64 s[0:1], 1, v4
	v_cmp_lt_u32_e64 s[2:3], 3, v4
	;; [unrolled: 1-line block ×3, first 2 shown]
	v_add_u32_e32 v4, -1, v3
	v_and_b32_e32 v5, 0x70, v3
	v_cmp_lt_i32_e64 s[6:7], v4, v5
	v_cndmask_b32_e64 v3, v4, v3, s[6:7]
	v_lshlrev_b32_e32 v3, 2, v3
	s_movk_i32 s6, 0x64
	v_mov_b32_e32 v4, s12
.LBB57_1:                               ; =>This Inner Loop Header: Depth=1
	s_waitcnt vmcnt(0)
	v_mov_b32_dpp v5, v2 row_shr:1 row_mask:0xf bank_mask:0xf
	v_add_f32_e32 v5, v2, v5
	v_cndmask_b32_e32 v2, v5, v2, vcc
	s_add_i32 s6, s6, -1
	s_cmp_lg_u32 s6, 0
	v_mov_b32_dpp v5, v2 row_shr:2 row_mask:0xf bank_mask:0xf
	v_add_f32_e32 v5, v2, v5
	v_cndmask_b32_e64 v2, v2, v5, s[0:1]
	s_nop 1
	v_mov_b32_dpp v5, v2 row_shr:4 row_mask:0xf bank_mask:0xf
	v_add_f32_e32 v5, v2, v5
	v_cndmask_b32_e64 v2, v2, v5, s[2:3]
	s_nop 1
	v_mov_b32_dpp v5, v2 row_shr:8 row_mask:0xf bank_mask:0xf
	v_add_f32_e32 v5, v2, v5
	v_cndmask_b32_e64 v2, v2, v5, s[4:5]
	v_add_f32_e32 v2, s12, v2
	ds_bpermute_b32 v2, v3, v2
	s_waitcnt lgkmcnt(0)
	v_cndmask_b32_e32 v2, v2, v4, vcc
	s_cbranch_scc1 .LBB57_1
; %bb.2:
	v_mov_b32_e32 v3, s11
	v_add_co_u32_e32 v0, vcc, s10, v0
	v_addc_co_u32_e32 v1, vcc, v3, v1, vcc
	global_store_dword v[0:1], v2, off
	s_endpgm
	.section	.rodata,"a",@progbits
	.p2align	6, 0x0
	.amdhsa_kernel _Z6kernelI14exclusive_scanfLj256ELj16ELj100EEvPKT0_PS1_S1_
		.amdhsa_group_segment_fixed_size 0
		.amdhsa_private_segment_fixed_size 0
		.amdhsa_kernarg_size 280
		.amdhsa_user_sgpr_count 6
		.amdhsa_user_sgpr_private_segment_buffer 1
		.amdhsa_user_sgpr_dispatch_ptr 0
		.amdhsa_user_sgpr_queue_ptr 0
		.amdhsa_user_sgpr_kernarg_segment_ptr 1
		.amdhsa_user_sgpr_dispatch_id 0
		.amdhsa_user_sgpr_flat_scratch_init 0
		.amdhsa_user_sgpr_private_segment_size 0
		.amdhsa_uses_dynamic_stack 0
		.amdhsa_system_sgpr_private_segment_wavefront_offset 0
		.amdhsa_system_sgpr_workgroup_id_x 1
		.amdhsa_system_sgpr_workgroup_id_y 0
		.amdhsa_system_sgpr_workgroup_id_z 0
		.amdhsa_system_sgpr_workgroup_info 0
		.amdhsa_system_vgpr_workitem_id 0
		.amdhsa_next_free_vgpr 6
		.amdhsa_next_free_sgpr 13
		.amdhsa_reserve_vcc 1
		.amdhsa_reserve_flat_scratch 0
		.amdhsa_float_round_mode_32 0
		.amdhsa_float_round_mode_16_64 0
		.amdhsa_float_denorm_mode_32 3
		.amdhsa_float_denorm_mode_16_64 3
		.amdhsa_dx10_clamp 1
		.amdhsa_ieee_mode 1
		.amdhsa_fp16_overflow 0
		.amdhsa_exception_fp_ieee_invalid_op 0
		.amdhsa_exception_fp_denorm_src 0
		.amdhsa_exception_fp_ieee_div_zero 0
		.amdhsa_exception_fp_ieee_overflow 0
		.amdhsa_exception_fp_ieee_underflow 0
		.amdhsa_exception_fp_ieee_inexact 0
		.amdhsa_exception_int_div_zero 0
	.end_amdhsa_kernel
	.section	.text._Z6kernelI14exclusive_scanfLj256ELj16ELj100EEvPKT0_PS1_S1_,"axG",@progbits,_Z6kernelI14exclusive_scanfLj256ELj16ELj100EEvPKT0_PS1_S1_,comdat
.Lfunc_end57:
	.size	_Z6kernelI14exclusive_scanfLj256ELj16ELj100EEvPKT0_PS1_S1_, .Lfunc_end57-_Z6kernelI14exclusive_scanfLj256ELj16ELj100EEvPKT0_PS1_S1_
                                        ; -- End function
	.set _Z6kernelI14exclusive_scanfLj256ELj16ELj100EEvPKT0_PS1_S1_.num_vgpr, 6
	.set _Z6kernelI14exclusive_scanfLj256ELj16ELj100EEvPKT0_PS1_S1_.num_agpr, 0
	.set _Z6kernelI14exclusive_scanfLj256ELj16ELj100EEvPKT0_PS1_S1_.numbered_sgpr, 13
	.set _Z6kernelI14exclusive_scanfLj256ELj16ELj100EEvPKT0_PS1_S1_.num_named_barrier, 0
	.set _Z6kernelI14exclusive_scanfLj256ELj16ELj100EEvPKT0_PS1_S1_.private_seg_size, 0
	.set _Z6kernelI14exclusive_scanfLj256ELj16ELj100EEvPKT0_PS1_S1_.uses_vcc, 1
	.set _Z6kernelI14exclusive_scanfLj256ELj16ELj100EEvPKT0_PS1_S1_.uses_flat_scratch, 0
	.set _Z6kernelI14exclusive_scanfLj256ELj16ELj100EEvPKT0_PS1_S1_.has_dyn_sized_stack, 0
	.set _Z6kernelI14exclusive_scanfLj256ELj16ELj100EEvPKT0_PS1_S1_.has_recursion, 0
	.set _Z6kernelI14exclusive_scanfLj256ELj16ELj100EEvPKT0_PS1_S1_.has_indirect_call, 0
	.section	.AMDGPU.csdata,"",@progbits
; Kernel info:
; codeLenInByte = 308
; TotalNumSgprs: 17
; NumVgprs: 6
; ScratchSize: 0
; MemoryBound: 0
; FloatMode: 240
; IeeeMode: 1
; LDSByteSize: 0 bytes/workgroup (compile time only)
; SGPRBlocks: 2
; VGPRBlocks: 1
; NumSGPRsForWavesPerEU: 17
; NumVGPRsForWavesPerEU: 6
; Occupancy: 10
; WaveLimiterHint : 0
; COMPUTE_PGM_RSRC2:SCRATCH_EN: 0
; COMPUTE_PGM_RSRC2:USER_SGPR: 6
; COMPUTE_PGM_RSRC2:TRAP_HANDLER: 0
; COMPUTE_PGM_RSRC2:TGID_X_EN: 1
; COMPUTE_PGM_RSRC2:TGID_Y_EN: 0
; COMPUTE_PGM_RSRC2:TGID_Z_EN: 0
; COMPUTE_PGM_RSRC2:TIDIG_COMP_CNT: 0
	.section	.text._Z6kernelI14exclusive_scanfLj62ELj31ELj100EEvPKT0_PS1_S1_,"axG",@progbits,_Z6kernelI14exclusive_scanfLj62ELj31ELj100EEvPKT0_PS1_S1_,comdat
	.protected	_Z6kernelI14exclusive_scanfLj62ELj31ELj100EEvPKT0_PS1_S1_ ; -- Begin function _Z6kernelI14exclusive_scanfLj62ELj31ELj100EEvPKT0_PS1_S1_
	.globl	_Z6kernelI14exclusive_scanfLj62ELj31ELj100EEvPKT0_PS1_S1_
	.p2align	8
	.type	_Z6kernelI14exclusive_scanfLj62ELj31ELj100EEvPKT0_PS1_S1_,@function
_Z6kernelI14exclusive_scanfLj62ELj31ELj100EEvPKT0_PS1_S1_: ; @_Z6kernelI14exclusive_scanfLj62ELj31ELj100EEvPKT0_PS1_S1_
; %bb.0:
	s_load_dword s0, s[4:5], 0x24
	s_load_dwordx4 s[8:11], s[4:5], 0x0
	s_load_dword s12, s[4:5], 0x10
	v_mov_b32_e32 v1, 0
	s_movk_i32 s13, 0x64
	s_waitcnt lgkmcnt(0)
	s_and_b32 s0, s0, 0xffff
	s_mul_i32 s6, s6, s0
	v_add_u32_e32 v0, s6, v0
	v_lshlrev_b64 v[0:1], 2, v[0:1]
	v_mov_b32_e32 v3, s9
	v_add_co_u32_e32 v2, vcc, s8, v0
	v_addc_co_u32_e32 v3, vcc, v3, v1, vcc
	global_load_dword v2, v[2:3], off
	v_mbcnt_lo_u32_b32 v3, -1, 0
	v_mbcnt_hi_u32_b32 v3, -1, v3
	s_mov_b32 s0, 0x8421085
	v_mul_hi_u32 v4, v3, s0
	v_mul_u32_u24_e32 v4, 31, v4
	v_sub_u32_e32 v4, v3, v4
	v_lshlrev_b32_e32 v3, 2, v4
	v_cmp_ne_u32_e32 vcc, 0, v4
	v_cmp_lt_u32_e64 s[0:1], 1, v4
	v_cmp_lt_u32_e64 s[2:3], 3, v4
	;; [unrolled: 1-line block ×4, first 2 shown]
	v_add_u32_e32 v4, -4, v3
	v_add_u32_e32 v5, -8, v3
	v_add_u32_e32 v6, -16, v3
	v_subrev_u32_e32 v7, 32, v3
	v_subrev_u32_e32 v8, 64, v3
	s_branch .LBB58_2
.LBB58_1:                               ;   in Loop: Header=BB58_2 Depth=1
	s_or_b64 exec, exec, s[8:9]
	s_add_i32 s13, s13, -1
	s_cmp_lg_u32 s13, 0
	s_cbranch_scc0 .LBB58_24
.LBB58_2:                               ; =>This Inner Loop Header: Depth=1
	s_waitcnt vmcnt(0)
	ds_write_b32 v3, v2
	; wave barrier
	s_and_saveexec_b64 s[8:9], vcc
	s_cbranch_execz .LBB58_4
; %bb.3:                                ;   in Loop: Header=BB58_2 Depth=1
	ds_read_b32 v9, v4
	s_waitcnt lgkmcnt(0)
	v_add_f32_e32 v2, v2, v9
.LBB58_4:                               ;   in Loop: Header=BB58_2 Depth=1
	s_or_b64 exec, exec, s[8:9]
	; wave barrier
	s_and_saveexec_b64 s[8:9], vcc
; %bb.5:                                ;   in Loop: Header=BB58_2 Depth=1
	ds_write_b32 v3, v2
; %bb.6:                                ;   in Loop: Header=BB58_2 Depth=1
	s_or_b64 exec, exec, s[8:9]
	; wave barrier
	s_and_saveexec_b64 s[8:9], s[0:1]
	s_cbranch_execz .LBB58_8
; %bb.7:                                ;   in Loop: Header=BB58_2 Depth=1
	ds_read_b32 v9, v5
	s_waitcnt lgkmcnt(0)
	v_add_f32_e32 v2, v2, v9
.LBB58_8:                               ;   in Loop: Header=BB58_2 Depth=1
	s_or_b64 exec, exec, s[8:9]
	; wave barrier
	s_and_saveexec_b64 s[8:9], s[0:1]
; %bb.9:                                ;   in Loop: Header=BB58_2 Depth=1
	ds_write_b32 v3, v2
; %bb.10:                               ;   in Loop: Header=BB58_2 Depth=1
	s_or_b64 exec, exec, s[8:9]
	; wave barrier
	s_and_saveexec_b64 s[8:9], s[2:3]
	s_cbranch_execz .LBB58_12
; %bb.11:                               ;   in Loop: Header=BB58_2 Depth=1
	ds_read_b32 v9, v6
	s_waitcnt lgkmcnt(0)
	v_add_f32_e32 v2, v2, v9
.LBB58_12:                              ;   in Loop: Header=BB58_2 Depth=1
	s_or_b64 exec, exec, s[8:9]
	; wave barrier
	s_and_saveexec_b64 s[8:9], s[2:3]
; %bb.13:                               ;   in Loop: Header=BB58_2 Depth=1
	ds_write_b32 v3, v2
; %bb.14:                               ;   in Loop: Header=BB58_2 Depth=1
	s_or_b64 exec, exec, s[8:9]
	; wave barrier
	s_and_saveexec_b64 s[8:9], s[4:5]
	s_cbranch_execz .LBB58_16
; %bb.15:                               ;   in Loop: Header=BB58_2 Depth=1
	ds_read_b32 v9, v7
	s_waitcnt lgkmcnt(0)
	v_add_f32_e32 v2, v2, v9
.LBB58_16:                              ;   in Loop: Header=BB58_2 Depth=1
	s_or_b64 exec, exec, s[8:9]
	; wave barrier
	s_and_saveexec_b64 s[8:9], s[4:5]
; %bb.17:                               ;   in Loop: Header=BB58_2 Depth=1
	ds_write_b32 v3, v2
; %bb.18:                               ;   in Loop: Header=BB58_2 Depth=1
	s_or_b64 exec, exec, s[8:9]
	; wave barrier
	s_and_saveexec_b64 s[8:9], s[6:7]
	s_cbranch_execz .LBB58_20
; %bb.19:                               ;   in Loop: Header=BB58_2 Depth=1
	ds_read_b32 v9, v8
	s_waitcnt lgkmcnt(0)
	v_add_f32_e32 v2, v2, v9
.LBB58_20:                              ;   in Loop: Header=BB58_2 Depth=1
	s_or_b64 exec, exec, s[8:9]
	; wave barrier
	s_and_saveexec_b64 s[8:9], s[6:7]
; %bb.21:                               ;   in Loop: Header=BB58_2 Depth=1
	ds_write_b32 v3, v2
; %bb.22:                               ;   in Loop: Header=BB58_2 Depth=1
	s_or_b64 exec, exec, s[8:9]
	v_mov_b32_e32 v2, s12
	; wave barrier
	s_and_saveexec_b64 s[8:9], vcc
	s_cbranch_execz .LBB58_1
; %bb.23:                               ;   in Loop: Header=BB58_2 Depth=1
	ds_read_b32 v2, v4
	s_waitcnt lgkmcnt(0)
	v_add_f32_e32 v2, s12, v2
	s_branch .LBB58_1
.LBB58_24:
	v_mov_b32_e32 v3, s11
	v_add_co_u32_e32 v0, vcc, s10, v0
	v_addc_co_u32_e32 v1, vcc, v3, v1, vcc
	global_store_dword v[0:1], v2, off
	s_endpgm
	.section	.rodata,"a",@progbits
	.p2align	6, 0x0
	.amdhsa_kernel _Z6kernelI14exclusive_scanfLj62ELj31ELj100EEvPKT0_PS1_S1_
		.amdhsa_group_segment_fixed_size 124
		.amdhsa_private_segment_fixed_size 0
		.amdhsa_kernarg_size 280
		.amdhsa_user_sgpr_count 6
		.amdhsa_user_sgpr_private_segment_buffer 1
		.amdhsa_user_sgpr_dispatch_ptr 0
		.amdhsa_user_sgpr_queue_ptr 0
		.amdhsa_user_sgpr_kernarg_segment_ptr 1
		.amdhsa_user_sgpr_dispatch_id 0
		.amdhsa_user_sgpr_flat_scratch_init 0
		.amdhsa_user_sgpr_private_segment_size 0
		.amdhsa_uses_dynamic_stack 0
		.amdhsa_system_sgpr_private_segment_wavefront_offset 0
		.amdhsa_system_sgpr_workgroup_id_x 1
		.amdhsa_system_sgpr_workgroup_id_y 0
		.amdhsa_system_sgpr_workgroup_id_z 0
		.amdhsa_system_sgpr_workgroup_info 0
		.amdhsa_system_vgpr_workitem_id 0
		.amdhsa_next_free_vgpr 10
		.amdhsa_next_free_sgpr 14
		.amdhsa_reserve_vcc 1
		.amdhsa_reserve_flat_scratch 0
		.amdhsa_float_round_mode_32 0
		.amdhsa_float_round_mode_16_64 0
		.amdhsa_float_denorm_mode_32 3
		.amdhsa_float_denorm_mode_16_64 3
		.amdhsa_dx10_clamp 1
		.amdhsa_ieee_mode 1
		.amdhsa_fp16_overflow 0
		.amdhsa_exception_fp_ieee_invalid_op 0
		.amdhsa_exception_fp_denorm_src 0
		.amdhsa_exception_fp_ieee_div_zero 0
		.amdhsa_exception_fp_ieee_overflow 0
		.amdhsa_exception_fp_ieee_underflow 0
		.amdhsa_exception_fp_ieee_inexact 0
		.amdhsa_exception_int_div_zero 0
	.end_amdhsa_kernel
	.section	.text._Z6kernelI14exclusive_scanfLj62ELj31ELj100EEvPKT0_PS1_S1_,"axG",@progbits,_Z6kernelI14exclusive_scanfLj62ELj31ELj100EEvPKT0_PS1_S1_,comdat
.Lfunc_end58:
	.size	_Z6kernelI14exclusive_scanfLj62ELj31ELj100EEvPKT0_PS1_S1_, .Lfunc_end58-_Z6kernelI14exclusive_scanfLj62ELj31ELj100EEvPKT0_PS1_S1_
                                        ; -- End function
	.set _Z6kernelI14exclusive_scanfLj62ELj31ELj100EEvPKT0_PS1_S1_.num_vgpr, 10
	.set _Z6kernelI14exclusive_scanfLj62ELj31ELj100EEvPKT0_PS1_S1_.num_agpr, 0
	.set _Z6kernelI14exclusive_scanfLj62ELj31ELj100EEvPKT0_PS1_S1_.numbered_sgpr, 14
	.set _Z6kernelI14exclusive_scanfLj62ELj31ELj100EEvPKT0_PS1_S1_.num_named_barrier, 0
	.set _Z6kernelI14exclusive_scanfLj62ELj31ELj100EEvPKT0_PS1_S1_.private_seg_size, 0
	.set _Z6kernelI14exclusive_scanfLj62ELj31ELj100EEvPKT0_PS1_S1_.uses_vcc, 1
	.set _Z6kernelI14exclusive_scanfLj62ELj31ELj100EEvPKT0_PS1_S1_.uses_flat_scratch, 0
	.set _Z6kernelI14exclusive_scanfLj62ELj31ELj100EEvPKT0_PS1_S1_.has_dyn_sized_stack, 0
	.set _Z6kernelI14exclusive_scanfLj62ELj31ELj100EEvPKT0_PS1_S1_.has_recursion, 0
	.set _Z6kernelI14exclusive_scanfLj62ELj31ELj100EEvPKT0_PS1_S1_.has_indirect_call, 0
	.section	.AMDGPU.csdata,"",@progbits
; Kernel info:
; codeLenInByte = 488
; TotalNumSgprs: 18
; NumVgprs: 10
; ScratchSize: 0
; MemoryBound: 0
; FloatMode: 240
; IeeeMode: 1
; LDSByteSize: 124 bytes/workgroup (compile time only)
; SGPRBlocks: 2
; VGPRBlocks: 2
; NumSGPRsForWavesPerEU: 18
; NumVGPRsForWavesPerEU: 10
; Occupancy: 10
; WaveLimiterHint : 0
; COMPUTE_PGM_RSRC2:SCRATCH_EN: 0
; COMPUTE_PGM_RSRC2:USER_SGPR: 6
; COMPUTE_PGM_RSRC2:TRAP_HANDLER: 0
; COMPUTE_PGM_RSRC2:TGID_X_EN: 1
; COMPUTE_PGM_RSRC2:TGID_Y_EN: 0
; COMPUTE_PGM_RSRC2:TGID_Z_EN: 0
; COMPUTE_PGM_RSRC2:TIDIG_COMP_CNT: 0
	.section	.text._Z6kernelI14exclusive_scanfLj256ELj32ELj100EEvPKT0_PS1_S1_,"axG",@progbits,_Z6kernelI14exclusive_scanfLj256ELj32ELj100EEvPKT0_PS1_S1_,comdat
	.protected	_Z6kernelI14exclusive_scanfLj256ELj32ELj100EEvPKT0_PS1_S1_ ; -- Begin function _Z6kernelI14exclusive_scanfLj256ELj32ELj100EEvPKT0_PS1_S1_
	.globl	_Z6kernelI14exclusive_scanfLj256ELj32ELj100EEvPKT0_PS1_S1_
	.p2align	8
	.type	_Z6kernelI14exclusive_scanfLj256ELj32ELj100EEvPKT0_PS1_S1_,@function
_Z6kernelI14exclusive_scanfLj256ELj32ELj100EEvPKT0_PS1_S1_: ; @_Z6kernelI14exclusive_scanfLj256ELj32ELj100EEvPKT0_PS1_S1_
; %bb.0:
	s_load_dword s0, s[4:5], 0x24
	s_load_dwordx4 s[8:11], s[4:5], 0x0
	s_load_dword s12, s[4:5], 0x10
	v_mov_b32_e32 v1, 0
	s_movk_i32 s13, 0x64
	s_waitcnt lgkmcnt(0)
	s_and_b32 s0, s0, 0xffff
	s_mul_i32 s6, s6, s0
	v_add_u32_e32 v0, s6, v0
	v_lshlrev_b64 v[0:1], 2, v[0:1]
	v_mov_b32_e32 v3, s9
	v_add_co_u32_e32 v2, vcc, s8, v0
	v_addc_co_u32_e32 v3, vcc, v3, v1, vcc
	global_load_dword v2, v[2:3], off
	v_mbcnt_lo_u32_b32 v3, -1, 0
	v_mbcnt_hi_u32_b32 v4, -1, v3
	v_and_b32_e32 v3, 15, v4
	v_cmp_eq_u32_e32 vcc, 0, v3
	v_cmp_lt_u32_e64 s[0:1], 1, v3
	v_cmp_lt_u32_e64 s[2:3], 3, v3
	;; [unrolled: 1-line block ×3, first 2 shown]
	v_and_b32_e32 v3, 16, v4
	v_cmp_eq_u32_e64 s[6:7], 0, v3
	v_add_u32_e32 v3, -1, v4
	v_and_b32_e32 v5, 0x60, v4
	v_cmp_lt_i32_e64 s[8:9], v3, v5
	v_cndmask_b32_e64 v3, v3, v4, s[8:9]
	v_and_b32_e32 v4, 31, v4
	v_lshlrev_b32_e32 v3, 2, v3
	v_cmp_eq_u32_e64 s[8:9], 0, v4
	v_mov_b32_e32 v4, s12
.LBB59_1:                               ; =>This Inner Loop Header: Depth=1
	s_waitcnt vmcnt(0)
	v_mov_b32_dpp v5, v2 row_shr:1 row_mask:0xf bank_mask:0xf
	v_add_f32_e32 v5, v2, v5
	v_cndmask_b32_e32 v2, v5, v2, vcc
	s_add_i32 s13, s13, -1
	s_cmp_lg_u32 s13, 0
	v_mov_b32_dpp v5, v2 row_shr:2 row_mask:0xf bank_mask:0xf
	v_add_f32_e32 v5, v2, v5
	v_cndmask_b32_e64 v2, v2, v5, s[0:1]
	s_nop 1
	v_mov_b32_dpp v5, v2 row_shr:4 row_mask:0xf bank_mask:0xf
	v_add_f32_e32 v5, v2, v5
	v_cndmask_b32_e64 v2, v2, v5, s[2:3]
	s_nop 1
	;; [unrolled: 4-line block ×3, first 2 shown]
	v_mov_b32_dpp v5, v2 row_bcast:15 row_mask:0xf bank_mask:0xf
	v_add_f32_e32 v5, v2, v5
	v_cndmask_b32_e64 v2, v5, v2, s[6:7]
	v_add_f32_e32 v2, s12, v2
	ds_bpermute_b32 v2, v3, v2
	s_waitcnt lgkmcnt(0)
	v_cndmask_b32_e64 v2, v2, v4, s[8:9]
	s_cbranch_scc1 .LBB59_1
; %bb.2:
	v_mov_b32_e32 v3, s11
	v_add_co_u32_e32 v0, vcc, s10, v0
	v_addc_co_u32_e32 v1, vcc, v3, v1, vcc
	global_store_dword v[0:1], v2, off
	s_endpgm
	.section	.rodata,"a",@progbits
	.p2align	6, 0x0
	.amdhsa_kernel _Z6kernelI14exclusive_scanfLj256ELj32ELj100EEvPKT0_PS1_S1_
		.amdhsa_group_segment_fixed_size 0
		.amdhsa_private_segment_fixed_size 0
		.amdhsa_kernarg_size 280
		.amdhsa_user_sgpr_count 6
		.amdhsa_user_sgpr_private_segment_buffer 1
		.amdhsa_user_sgpr_dispatch_ptr 0
		.amdhsa_user_sgpr_queue_ptr 0
		.amdhsa_user_sgpr_kernarg_segment_ptr 1
		.amdhsa_user_sgpr_dispatch_id 0
		.amdhsa_user_sgpr_flat_scratch_init 0
		.amdhsa_user_sgpr_private_segment_size 0
		.amdhsa_uses_dynamic_stack 0
		.amdhsa_system_sgpr_private_segment_wavefront_offset 0
		.amdhsa_system_sgpr_workgroup_id_x 1
		.amdhsa_system_sgpr_workgroup_id_y 0
		.amdhsa_system_sgpr_workgroup_id_z 0
		.amdhsa_system_sgpr_workgroup_info 0
		.amdhsa_system_vgpr_workitem_id 0
		.amdhsa_next_free_vgpr 6
		.amdhsa_next_free_sgpr 14
		.amdhsa_reserve_vcc 1
		.amdhsa_reserve_flat_scratch 0
		.amdhsa_float_round_mode_32 0
		.amdhsa_float_round_mode_16_64 0
		.amdhsa_float_denorm_mode_32 3
		.amdhsa_float_denorm_mode_16_64 3
		.amdhsa_dx10_clamp 1
		.amdhsa_ieee_mode 1
		.amdhsa_fp16_overflow 0
		.amdhsa_exception_fp_ieee_invalid_op 0
		.amdhsa_exception_fp_denorm_src 0
		.amdhsa_exception_fp_ieee_div_zero 0
		.amdhsa_exception_fp_ieee_overflow 0
		.amdhsa_exception_fp_ieee_underflow 0
		.amdhsa_exception_fp_ieee_inexact 0
		.amdhsa_exception_int_div_zero 0
	.end_amdhsa_kernel
	.section	.text._Z6kernelI14exclusive_scanfLj256ELj32ELj100EEvPKT0_PS1_S1_,"axG",@progbits,_Z6kernelI14exclusive_scanfLj256ELj32ELj100EEvPKT0_PS1_S1_,comdat
.Lfunc_end59:
	.size	_Z6kernelI14exclusive_scanfLj256ELj32ELj100EEvPKT0_PS1_S1_, .Lfunc_end59-_Z6kernelI14exclusive_scanfLj256ELj32ELj100EEvPKT0_PS1_S1_
                                        ; -- End function
	.set _Z6kernelI14exclusive_scanfLj256ELj32ELj100EEvPKT0_PS1_S1_.num_vgpr, 6
	.set _Z6kernelI14exclusive_scanfLj256ELj32ELj100EEvPKT0_PS1_S1_.num_agpr, 0
	.set _Z6kernelI14exclusive_scanfLj256ELj32ELj100EEvPKT0_PS1_S1_.numbered_sgpr, 14
	.set _Z6kernelI14exclusive_scanfLj256ELj32ELj100EEvPKT0_PS1_S1_.num_named_barrier, 0
	.set _Z6kernelI14exclusive_scanfLj256ELj32ELj100EEvPKT0_PS1_S1_.private_seg_size, 0
	.set _Z6kernelI14exclusive_scanfLj256ELj32ELj100EEvPKT0_PS1_S1_.uses_vcc, 1
	.set _Z6kernelI14exclusive_scanfLj256ELj32ELj100EEvPKT0_PS1_S1_.uses_flat_scratch, 0
	.set _Z6kernelI14exclusive_scanfLj256ELj32ELj100EEvPKT0_PS1_S1_.has_dyn_sized_stack, 0
	.set _Z6kernelI14exclusive_scanfLj256ELj32ELj100EEvPKT0_PS1_S1_.has_recursion, 0
	.set _Z6kernelI14exclusive_scanfLj256ELj32ELj100EEvPKT0_PS1_S1_.has_indirect_call, 0
	.section	.AMDGPU.csdata,"",@progbits
; Kernel info:
; codeLenInByte = 360
; TotalNumSgprs: 18
; NumVgprs: 6
; ScratchSize: 0
; MemoryBound: 0
; FloatMode: 240
; IeeeMode: 1
; LDSByteSize: 0 bytes/workgroup (compile time only)
; SGPRBlocks: 2
; VGPRBlocks: 1
; NumSGPRsForWavesPerEU: 18
; NumVGPRsForWavesPerEU: 6
; Occupancy: 10
; WaveLimiterHint : 0
; COMPUTE_PGM_RSRC2:SCRATCH_EN: 0
; COMPUTE_PGM_RSRC2:USER_SGPR: 6
; COMPUTE_PGM_RSRC2:TRAP_HANDLER: 0
; COMPUTE_PGM_RSRC2:TGID_X_EN: 1
; COMPUTE_PGM_RSRC2:TGID_Y_EN: 0
; COMPUTE_PGM_RSRC2:TGID_Z_EN: 0
; COMPUTE_PGM_RSRC2:TIDIG_COMP_CNT: 0
	.section	.text._Z6kernelI14exclusive_scanfLj63ELj63ELj100EEvPKT0_PS1_S1_,"axG",@progbits,_Z6kernelI14exclusive_scanfLj63ELj63ELj100EEvPKT0_PS1_S1_,comdat
	.protected	_Z6kernelI14exclusive_scanfLj63ELj63ELj100EEvPKT0_PS1_S1_ ; -- Begin function _Z6kernelI14exclusive_scanfLj63ELj63ELj100EEvPKT0_PS1_S1_
	.globl	_Z6kernelI14exclusive_scanfLj63ELj63ELj100EEvPKT0_PS1_S1_
	.p2align	8
	.type	_Z6kernelI14exclusive_scanfLj63ELj63ELj100EEvPKT0_PS1_S1_,@function
_Z6kernelI14exclusive_scanfLj63ELj63ELj100EEvPKT0_PS1_S1_: ; @_Z6kernelI14exclusive_scanfLj63ELj63ELj100EEvPKT0_PS1_S1_
; %bb.0:
	s_load_dword s0, s[4:5], 0x24
	s_load_dwordx4 s[8:11], s[4:5], 0x0
	s_load_dword s14, s[4:5], 0x10
	v_mov_b32_e32 v1, 0
	s_movk_i32 s15, 0x64
	s_waitcnt lgkmcnt(0)
	s_and_b32 s0, s0, 0xffff
	s_mul_i32 s6, s6, s0
	v_add_u32_e32 v0, s6, v0
	v_lshlrev_b64 v[0:1], 2, v[0:1]
	v_mov_b32_e32 v3, s9
	v_add_co_u32_e32 v2, vcc, s8, v0
	v_addc_co_u32_e32 v3, vcc, v3, v1, vcc
	global_load_dword v2, v[2:3], off
	v_mbcnt_lo_u32_b32 v3, -1, 0
	v_mbcnt_hi_u32_b32 v3, -1, v3
	s_mov_b32 s0, 0x4104105
	v_mul_hi_u32 v4, v3, s0
	v_mul_u32_u24_e32 v4, 63, v4
	v_sub_u32_e32 v4, v3, v4
	v_lshlrev_b32_e32 v3, 2, v4
	v_cmp_ne_u32_e32 vcc, 0, v4
	v_cmp_lt_u32_e64 s[0:1], 1, v4
	v_cmp_lt_u32_e64 s[2:3], 3, v4
	;; [unrolled: 1-line block ×5, first 2 shown]
	v_add_u32_e32 v4, -4, v3
	v_add_u32_e32 v5, -8, v3
	;; [unrolled: 1-line block ×3, first 2 shown]
	v_subrev_u32_e32 v7, 32, v3
	v_subrev_u32_e32 v8, 64, v3
	v_add_u32_e32 v9, 0xffffff80, v3
	s_branch .LBB60_2
.LBB60_1:                               ;   in Loop: Header=BB60_2 Depth=1
	s_or_b64 exec, exec, s[12:13]
	s_add_i32 s15, s15, -1
	s_cmp_lg_u32 s15, 0
	s_cbranch_scc0 .LBB60_28
.LBB60_2:                               ; =>This Inner Loop Header: Depth=1
	s_waitcnt vmcnt(0)
	ds_write_b32 v3, v2
	; wave barrier
	s_and_saveexec_b64 s[12:13], vcc
	s_cbranch_execz .LBB60_4
; %bb.3:                                ;   in Loop: Header=BB60_2 Depth=1
	ds_read_b32 v10, v4
	s_waitcnt lgkmcnt(0)
	v_add_f32_e32 v2, v2, v10
.LBB60_4:                               ;   in Loop: Header=BB60_2 Depth=1
	s_or_b64 exec, exec, s[12:13]
	; wave barrier
	s_and_saveexec_b64 s[12:13], vcc
; %bb.5:                                ;   in Loop: Header=BB60_2 Depth=1
	ds_write_b32 v3, v2
; %bb.6:                                ;   in Loop: Header=BB60_2 Depth=1
	s_or_b64 exec, exec, s[12:13]
	; wave barrier
	s_and_saveexec_b64 s[12:13], s[0:1]
	s_cbranch_execz .LBB60_8
; %bb.7:                                ;   in Loop: Header=BB60_2 Depth=1
	ds_read_b32 v10, v5
	s_waitcnt lgkmcnt(0)
	v_add_f32_e32 v2, v2, v10
.LBB60_8:                               ;   in Loop: Header=BB60_2 Depth=1
	s_or_b64 exec, exec, s[12:13]
	; wave barrier
	s_and_saveexec_b64 s[12:13], s[0:1]
; %bb.9:                                ;   in Loop: Header=BB60_2 Depth=1
	ds_write_b32 v3, v2
; %bb.10:                               ;   in Loop: Header=BB60_2 Depth=1
	s_or_b64 exec, exec, s[12:13]
	; wave barrier
	s_and_saveexec_b64 s[12:13], s[2:3]
	s_cbranch_execz .LBB60_12
; %bb.11:                               ;   in Loop: Header=BB60_2 Depth=1
	ds_read_b32 v10, v6
	s_waitcnt lgkmcnt(0)
	v_add_f32_e32 v2, v2, v10
.LBB60_12:                              ;   in Loop: Header=BB60_2 Depth=1
	s_or_b64 exec, exec, s[12:13]
	; wave barrier
	s_and_saveexec_b64 s[12:13], s[2:3]
; %bb.13:                               ;   in Loop: Header=BB60_2 Depth=1
	ds_write_b32 v3, v2
; %bb.14:                               ;   in Loop: Header=BB60_2 Depth=1
	s_or_b64 exec, exec, s[12:13]
	; wave barrier
	s_and_saveexec_b64 s[12:13], s[4:5]
	s_cbranch_execz .LBB60_16
; %bb.15:                               ;   in Loop: Header=BB60_2 Depth=1
	ds_read_b32 v10, v7
	s_waitcnt lgkmcnt(0)
	v_add_f32_e32 v2, v2, v10
.LBB60_16:                              ;   in Loop: Header=BB60_2 Depth=1
	s_or_b64 exec, exec, s[12:13]
	; wave barrier
	s_and_saveexec_b64 s[12:13], s[4:5]
; %bb.17:                               ;   in Loop: Header=BB60_2 Depth=1
	;; [unrolled: 15-line block ×4, first 2 shown]
	ds_write_b32 v3, v2
; %bb.26:                               ;   in Loop: Header=BB60_2 Depth=1
	s_or_b64 exec, exec, s[12:13]
	v_mov_b32_e32 v2, s14
	; wave barrier
	s_and_saveexec_b64 s[12:13], vcc
	s_cbranch_execz .LBB60_1
; %bb.27:                               ;   in Loop: Header=BB60_2 Depth=1
	ds_read_b32 v2, v4
	s_waitcnt lgkmcnt(0)
	v_add_f32_e32 v2, s14, v2
	s_branch .LBB60_1
.LBB60_28:
	v_mov_b32_e32 v3, s11
	v_add_co_u32_e32 v0, vcc, s10, v0
	v_addc_co_u32_e32 v1, vcc, v3, v1, vcc
	global_store_dword v[0:1], v2, off
	s_endpgm
	.section	.rodata,"a",@progbits
	.p2align	6, 0x0
	.amdhsa_kernel _Z6kernelI14exclusive_scanfLj63ELj63ELj100EEvPKT0_PS1_S1_
		.amdhsa_group_segment_fixed_size 252
		.amdhsa_private_segment_fixed_size 0
		.amdhsa_kernarg_size 280
		.amdhsa_user_sgpr_count 6
		.amdhsa_user_sgpr_private_segment_buffer 1
		.amdhsa_user_sgpr_dispatch_ptr 0
		.amdhsa_user_sgpr_queue_ptr 0
		.amdhsa_user_sgpr_kernarg_segment_ptr 1
		.amdhsa_user_sgpr_dispatch_id 0
		.amdhsa_user_sgpr_flat_scratch_init 0
		.amdhsa_user_sgpr_private_segment_size 0
		.amdhsa_uses_dynamic_stack 0
		.amdhsa_system_sgpr_private_segment_wavefront_offset 0
		.amdhsa_system_sgpr_workgroup_id_x 1
		.amdhsa_system_sgpr_workgroup_id_y 0
		.amdhsa_system_sgpr_workgroup_id_z 0
		.amdhsa_system_sgpr_workgroup_info 0
		.amdhsa_system_vgpr_workitem_id 0
		.amdhsa_next_free_vgpr 11
		.amdhsa_next_free_sgpr 16
		.amdhsa_reserve_vcc 1
		.amdhsa_reserve_flat_scratch 0
		.amdhsa_float_round_mode_32 0
		.amdhsa_float_round_mode_16_64 0
		.amdhsa_float_denorm_mode_32 3
		.amdhsa_float_denorm_mode_16_64 3
		.amdhsa_dx10_clamp 1
		.amdhsa_ieee_mode 1
		.amdhsa_fp16_overflow 0
		.amdhsa_exception_fp_ieee_invalid_op 0
		.amdhsa_exception_fp_denorm_src 0
		.amdhsa_exception_fp_ieee_div_zero 0
		.amdhsa_exception_fp_ieee_overflow 0
		.amdhsa_exception_fp_ieee_underflow 0
		.amdhsa_exception_fp_ieee_inexact 0
		.amdhsa_exception_int_div_zero 0
	.end_amdhsa_kernel
	.section	.text._Z6kernelI14exclusive_scanfLj63ELj63ELj100EEvPKT0_PS1_S1_,"axG",@progbits,_Z6kernelI14exclusive_scanfLj63ELj63ELj100EEvPKT0_PS1_S1_,comdat
.Lfunc_end60:
	.size	_Z6kernelI14exclusive_scanfLj63ELj63ELj100EEvPKT0_PS1_S1_, .Lfunc_end60-_Z6kernelI14exclusive_scanfLj63ELj63ELj100EEvPKT0_PS1_S1_
                                        ; -- End function
	.set _Z6kernelI14exclusive_scanfLj63ELj63ELj100EEvPKT0_PS1_S1_.num_vgpr, 11
	.set _Z6kernelI14exclusive_scanfLj63ELj63ELj100EEvPKT0_PS1_S1_.num_agpr, 0
	.set _Z6kernelI14exclusive_scanfLj63ELj63ELj100EEvPKT0_PS1_S1_.numbered_sgpr, 16
	.set _Z6kernelI14exclusive_scanfLj63ELj63ELj100EEvPKT0_PS1_S1_.num_named_barrier, 0
	.set _Z6kernelI14exclusive_scanfLj63ELj63ELj100EEvPKT0_PS1_S1_.private_seg_size, 0
	.set _Z6kernelI14exclusive_scanfLj63ELj63ELj100EEvPKT0_PS1_S1_.uses_vcc, 1
	.set _Z6kernelI14exclusive_scanfLj63ELj63ELj100EEvPKT0_PS1_S1_.uses_flat_scratch, 0
	.set _Z6kernelI14exclusive_scanfLj63ELj63ELj100EEvPKT0_PS1_S1_.has_dyn_sized_stack, 0
	.set _Z6kernelI14exclusive_scanfLj63ELj63ELj100EEvPKT0_PS1_S1_.has_recursion, 0
	.set _Z6kernelI14exclusive_scanfLj63ELj63ELj100EEvPKT0_PS1_S1_.has_indirect_call, 0
	.section	.AMDGPU.csdata,"",@progbits
; Kernel info:
; codeLenInByte = 548
; TotalNumSgprs: 20
; NumVgprs: 11
; ScratchSize: 0
; MemoryBound: 0
; FloatMode: 240
; IeeeMode: 1
; LDSByteSize: 252 bytes/workgroup (compile time only)
; SGPRBlocks: 2
; VGPRBlocks: 2
; NumSGPRsForWavesPerEU: 20
; NumVGPRsForWavesPerEU: 11
; Occupancy: 10
; WaveLimiterHint : 0
; COMPUTE_PGM_RSRC2:SCRATCH_EN: 0
; COMPUTE_PGM_RSRC2:USER_SGPR: 6
; COMPUTE_PGM_RSRC2:TRAP_HANDLER: 0
; COMPUTE_PGM_RSRC2:TGID_X_EN: 1
; COMPUTE_PGM_RSRC2:TGID_Y_EN: 0
; COMPUTE_PGM_RSRC2:TGID_Z_EN: 0
; COMPUTE_PGM_RSRC2:TIDIG_COMP_CNT: 0
	.section	.text._Z6kernelI14exclusive_scanfLj64ELj64ELj100EEvPKT0_PS1_S1_,"axG",@progbits,_Z6kernelI14exclusive_scanfLj64ELj64ELj100EEvPKT0_PS1_S1_,comdat
	.protected	_Z6kernelI14exclusive_scanfLj64ELj64ELj100EEvPKT0_PS1_S1_ ; -- Begin function _Z6kernelI14exclusive_scanfLj64ELj64ELj100EEvPKT0_PS1_S1_
	.globl	_Z6kernelI14exclusive_scanfLj64ELj64ELj100EEvPKT0_PS1_S1_
	.p2align	8
	.type	_Z6kernelI14exclusive_scanfLj64ELj64ELj100EEvPKT0_PS1_S1_,@function
_Z6kernelI14exclusive_scanfLj64ELj64ELj100EEvPKT0_PS1_S1_: ; @_Z6kernelI14exclusive_scanfLj64ELj64ELj100EEvPKT0_PS1_S1_
; %bb.0:
	s_load_dword s0, s[4:5], 0x24
	s_load_dwordx4 s[12:15], s[4:5], 0x0
	s_load_dword s16, s[4:5], 0x10
	v_mov_b32_e32 v1, 0
	s_waitcnt lgkmcnt(0)
	s_and_b32 s0, s0, 0xffff
	s_mul_i32 s6, s6, s0
	v_add_u32_e32 v0, s6, v0
	v_lshlrev_b64 v[0:1], 2, v[0:1]
	v_mov_b32_e32 v3, s13
	v_add_co_u32_e32 v2, vcc, s12, v0
	v_addc_co_u32_e32 v3, vcc, v3, v1, vcc
	global_load_dword v2, v[2:3], off
	v_mbcnt_lo_u32_b32 v3, -1, 0
	v_mbcnt_hi_u32_b32 v3, -1, v3
	v_and_b32_e32 v4, 15, v3
	v_cmp_eq_u32_e32 vcc, 0, v4
	v_cmp_lt_u32_e64 s[0:1], 1, v4
	v_cmp_lt_u32_e64 s[2:3], 3, v4
	;; [unrolled: 1-line block ×3, first 2 shown]
	v_and_b32_e32 v4, 16, v3
	v_cmp_eq_u32_e64 s[6:7], 0, v4
	v_subrev_co_u32_e64 v4, s[10:11], 1, v3
	v_and_b32_e32 v5, 64, v3
	v_cmp_lt_i32_e64 s[12:13], v4, v5
	v_cmp_lt_u32_e64 s[8:9], 31, v3
	v_cndmask_b32_e64 v3, v4, v3, s[12:13]
	v_lshlrev_b32_e32 v3, 2, v3
	s_movk_i32 s12, 0x64
	v_mov_b32_e32 v4, s16
.LBB61_1:                               ; =>This Inner Loop Header: Depth=1
	s_waitcnt vmcnt(0)
	v_mov_b32_dpp v5, v2 row_shr:1 row_mask:0xf bank_mask:0xf
	v_add_f32_e32 v5, v2, v5
	v_cndmask_b32_e32 v2, v5, v2, vcc
	s_add_i32 s12, s12, -1
	s_cmp_lg_u32 s12, 0
	v_mov_b32_dpp v5, v2 row_shr:2 row_mask:0xf bank_mask:0xf
	v_add_f32_e32 v5, v2, v5
	v_cndmask_b32_e64 v2, v2, v5, s[0:1]
	s_nop 1
	v_mov_b32_dpp v5, v2 row_shr:4 row_mask:0xf bank_mask:0xf
	v_add_f32_e32 v5, v2, v5
	v_cndmask_b32_e64 v2, v2, v5, s[2:3]
	s_nop 1
	;; [unrolled: 4-line block ×3, first 2 shown]
	v_mov_b32_dpp v5, v2 row_bcast:15 row_mask:0xf bank_mask:0xf
	v_add_f32_e32 v5, v2, v5
	v_cndmask_b32_e64 v2, v5, v2, s[6:7]
	s_nop 1
	v_mov_b32_dpp v5, v2 row_bcast:31 row_mask:0xf bank_mask:0xf
	v_add_f32_e32 v5, v2, v5
	v_cndmask_b32_e64 v2, v2, v5, s[8:9]
	v_add_f32_e32 v2, s16, v2
	ds_bpermute_b32 v2, v3, v2
	s_waitcnt lgkmcnt(0)
	v_cndmask_b32_e64 v2, v2, v4, s[10:11]
	s_cbranch_scc1 .LBB61_1
; %bb.2:
	v_mov_b32_e32 v3, s15
	v_add_co_u32_e32 v0, vcc, s14, v0
	v_addc_co_u32_e32 v1, vcc, v3, v1, vcc
	global_store_dword v[0:1], v2, off
	s_endpgm
	.section	.rodata,"a",@progbits
	.p2align	6, 0x0
	.amdhsa_kernel _Z6kernelI14exclusive_scanfLj64ELj64ELj100EEvPKT0_PS1_S1_
		.amdhsa_group_segment_fixed_size 0
		.amdhsa_private_segment_fixed_size 0
		.amdhsa_kernarg_size 280
		.amdhsa_user_sgpr_count 6
		.amdhsa_user_sgpr_private_segment_buffer 1
		.amdhsa_user_sgpr_dispatch_ptr 0
		.amdhsa_user_sgpr_queue_ptr 0
		.amdhsa_user_sgpr_kernarg_segment_ptr 1
		.amdhsa_user_sgpr_dispatch_id 0
		.amdhsa_user_sgpr_flat_scratch_init 0
		.amdhsa_user_sgpr_private_segment_size 0
		.amdhsa_uses_dynamic_stack 0
		.amdhsa_system_sgpr_private_segment_wavefront_offset 0
		.amdhsa_system_sgpr_workgroup_id_x 1
		.amdhsa_system_sgpr_workgroup_id_y 0
		.amdhsa_system_sgpr_workgroup_id_z 0
		.amdhsa_system_sgpr_workgroup_info 0
		.amdhsa_system_vgpr_workitem_id 0
		.amdhsa_next_free_vgpr 6
		.amdhsa_next_free_sgpr 17
		.amdhsa_reserve_vcc 1
		.amdhsa_reserve_flat_scratch 0
		.amdhsa_float_round_mode_32 0
		.amdhsa_float_round_mode_16_64 0
		.amdhsa_float_denorm_mode_32 3
		.amdhsa_float_denorm_mode_16_64 3
		.amdhsa_dx10_clamp 1
		.amdhsa_ieee_mode 1
		.amdhsa_fp16_overflow 0
		.amdhsa_exception_fp_ieee_invalid_op 0
		.amdhsa_exception_fp_denorm_src 0
		.amdhsa_exception_fp_ieee_div_zero 0
		.amdhsa_exception_fp_ieee_overflow 0
		.amdhsa_exception_fp_ieee_underflow 0
		.amdhsa_exception_fp_ieee_inexact 0
		.amdhsa_exception_int_div_zero 0
	.end_amdhsa_kernel
	.section	.text._Z6kernelI14exclusive_scanfLj64ELj64ELj100EEvPKT0_PS1_S1_,"axG",@progbits,_Z6kernelI14exclusive_scanfLj64ELj64ELj100EEvPKT0_PS1_S1_,comdat
.Lfunc_end61:
	.size	_Z6kernelI14exclusive_scanfLj64ELj64ELj100EEvPKT0_PS1_S1_, .Lfunc_end61-_Z6kernelI14exclusive_scanfLj64ELj64ELj100EEvPKT0_PS1_S1_
                                        ; -- End function
	.set _Z6kernelI14exclusive_scanfLj64ELj64ELj100EEvPKT0_PS1_S1_.num_vgpr, 6
	.set _Z6kernelI14exclusive_scanfLj64ELj64ELj100EEvPKT0_PS1_S1_.num_agpr, 0
	.set _Z6kernelI14exclusive_scanfLj64ELj64ELj100EEvPKT0_PS1_S1_.numbered_sgpr, 17
	.set _Z6kernelI14exclusive_scanfLj64ELj64ELj100EEvPKT0_PS1_S1_.num_named_barrier, 0
	.set _Z6kernelI14exclusive_scanfLj64ELj64ELj100EEvPKT0_PS1_S1_.private_seg_size, 0
	.set _Z6kernelI14exclusive_scanfLj64ELj64ELj100EEvPKT0_PS1_S1_.uses_vcc, 1
	.set _Z6kernelI14exclusive_scanfLj64ELj64ELj100EEvPKT0_PS1_S1_.uses_flat_scratch, 0
	.set _Z6kernelI14exclusive_scanfLj64ELj64ELj100EEvPKT0_PS1_S1_.has_dyn_sized_stack, 0
	.set _Z6kernelI14exclusive_scanfLj64ELj64ELj100EEvPKT0_PS1_S1_.has_recursion, 0
	.set _Z6kernelI14exclusive_scanfLj64ELj64ELj100EEvPKT0_PS1_S1_.has_indirect_call, 0
	.section	.AMDGPU.csdata,"",@progbits
; Kernel info:
; codeLenInByte = 380
; TotalNumSgprs: 21
; NumVgprs: 6
; ScratchSize: 0
; MemoryBound: 0
; FloatMode: 240
; IeeeMode: 1
; LDSByteSize: 0 bytes/workgroup (compile time only)
; SGPRBlocks: 2
; VGPRBlocks: 1
; NumSGPRsForWavesPerEU: 21
; NumVGPRsForWavesPerEU: 6
; Occupancy: 10
; WaveLimiterHint : 0
; COMPUTE_PGM_RSRC2:SCRATCH_EN: 0
; COMPUTE_PGM_RSRC2:USER_SGPR: 6
; COMPUTE_PGM_RSRC2:TRAP_HANDLER: 0
; COMPUTE_PGM_RSRC2:TGID_X_EN: 1
; COMPUTE_PGM_RSRC2:TGID_Y_EN: 0
; COMPUTE_PGM_RSRC2:TGID_Z_EN: 0
; COMPUTE_PGM_RSRC2:TIDIG_COMP_CNT: 0
	.section	.text._Z6kernelI14exclusive_scanfLj128ELj64ELj100EEvPKT0_PS1_S1_,"axG",@progbits,_Z6kernelI14exclusive_scanfLj128ELj64ELj100EEvPKT0_PS1_S1_,comdat
	.protected	_Z6kernelI14exclusive_scanfLj128ELj64ELj100EEvPKT0_PS1_S1_ ; -- Begin function _Z6kernelI14exclusive_scanfLj128ELj64ELj100EEvPKT0_PS1_S1_
	.globl	_Z6kernelI14exclusive_scanfLj128ELj64ELj100EEvPKT0_PS1_S1_
	.p2align	8
	.type	_Z6kernelI14exclusive_scanfLj128ELj64ELj100EEvPKT0_PS1_S1_,@function
_Z6kernelI14exclusive_scanfLj128ELj64ELj100EEvPKT0_PS1_S1_: ; @_Z6kernelI14exclusive_scanfLj128ELj64ELj100EEvPKT0_PS1_S1_
; %bb.0:
	s_load_dword s0, s[4:5], 0x24
	s_load_dwordx4 s[12:15], s[4:5], 0x0
	s_load_dword s16, s[4:5], 0x10
	v_mov_b32_e32 v1, 0
	s_waitcnt lgkmcnt(0)
	s_and_b32 s0, s0, 0xffff
	s_mul_i32 s6, s6, s0
	v_add_u32_e32 v0, s6, v0
	v_lshlrev_b64 v[0:1], 2, v[0:1]
	v_mov_b32_e32 v3, s13
	v_add_co_u32_e32 v2, vcc, s12, v0
	v_addc_co_u32_e32 v3, vcc, v3, v1, vcc
	global_load_dword v2, v[2:3], off
	v_mbcnt_lo_u32_b32 v3, -1, 0
	v_mbcnt_hi_u32_b32 v3, -1, v3
	v_and_b32_e32 v4, 15, v3
	v_cmp_eq_u32_e32 vcc, 0, v4
	v_cmp_lt_u32_e64 s[0:1], 1, v4
	v_cmp_lt_u32_e64 s[2:3], 3, v4
	;; [unrolled: 1-line block ×3, first 2 shown]
	v_and_b32_e32 v4, 16, v3
	v_cmp_eq_u32_e64 s[6:7], 0, v4
	v_subrev_co_u32_e64 v4, s[10:11], 1, v3
	v_and_b32_e32 v5, 64, v3
	v_cmp_lt_i32_e64 s[12:13], v4, v5
	v_cmp_lt_u32_e64 s[8:9], 31, v3
	v_cndmask_b32_e64 v3, v4, v3, s[12:13]
	v_lshlrev_b32_e32 v3, 2, v3
	s_movk_i32 s12, 0x64
	v_mov_b32_e32 v4, s16
.LBB62_1:                               ; =>This Inner Loop Header: Depth=1
	s_waitcnt vmcnt(0)
	v_mov_b32_dpp v5, v2 row_shr:1 row_mask:0xf bank_mask:0xf
	v_add_f32_e32 v5, v2, v5
	v_cndmask_b32_e32 v2, v5, v2, vcc
	s_add_i32 s12, s12, -1
	s_cmp_lg_u32 s12, 0
	v_mov_b32_dpp v5, v2 row_shr:2 row_mask:0xf bank_mask:0xf
	v_add_f32_e32 v5, v2, v5
	v_cndmask_b32_e64 v2, v2, v5, s[0:1]
	s_nop 1
	v_mov_b32_dpp v5, v2 row_shr:4 row_mask:0xf bank_mask:0xf
	v_add_f32_e32 v5, v2, v5
	v_cndmask_b32_e64 v2, v2, v5, s[2:3]
	s_nop 1
	v_mov_b32_dpp v5, v2 row_shr:8 row_mask:0xf bank_mask:0xf
	v_add_f32_e32 v5, v2, v5
	v_cndmask_b32_e64 v2, v2, v5, s[4:5]
	s_nop 1
	v_mov_b32_dpp v5, v2 row_bcast:15 row_mask:0xf bank_mask:0xf
	v_add_f32_e32 v5, v2, v5
	v_cndmask_b32_e64 v2, v5, v2, s[6:7]
	s_nop 1
	v_mov_b32_dpp v5, v2 row_bcast:31 row_mask:0xf bank_mask:0xf
	v_add_f32_e32 v5, v2, v5
	v_cndmask_b32_e64 v2, v2, v5, s[8:9]
	v_add_f32_e32 v2, s16, v2
	ds_bpermute_b32 v2, v3, v2
	s_waitcnt lgkmcnt(0)
	v_cndmask_b32_e64 v2, v2, v4, s[10:11]
	s_cbranch_scc1 .LBB62_1
; %bb.2:
	v_mov_b32_e32 v3, s15
	v_add_co_u32_e32 v0, vcc, s14, v0
	v_addc_co_u32_e32 v1, vcc, v3, v1, vcc
	global_store_dword v[0:1], v2, off
	s_endpgm
	.section	.rodata,"a",@progbits
	.p2align	6, 0x0
	.amdhsa_kernel _Z6kernelI14exclusive_scanfLj128ELj64ELj100EEvPKT0_PS1_S1_
		.amdhsa_group_segment_fixed_size 0
		.amdhsa_private_segment_fixed_size 0
		.amdhsa_kernarg_size 280
		.amdhsa_user_sgpr_count 6
		.amdhsa_user_sgpr_private_segment_buffer 1
		.amdhsa_user_sgpr_dispatch_ptr 0
		.amdhsa_user_sgpr_queue_ptr 0
		.amdhsa_user_sgpr_kernarg_segment_ptr 1
		.amdhsa_user_sgpr_dispatch_id 0
		.amdhsa_user_sgpr_flat_scratch_init 0
		.amdhsa_user_sgpr_private_segment_size 0
		.amdhsa_uses_dynamic_stack 0
		.amdhsa_system_sgpr_private_segment_wavefront_offset 0
		.amdhsa_system_sgpr_workgroup_id_x 1
		.amdhsa_system_sgpr_workgroup_id_y 0
		.amdhsa_system_sgpr_workgroup_id_z 0
		.amdhsa_system_sgpr_workgroup_info 0
		.amdhsa_system_vgpr_workitem_id 0
		.amdhsa_next_free_vgpr 6
		.amdhsa_next_free_sgpr 17
		.amdhsa_reserve_vcc 1
		.amdhsa_reserve_flat_scratch 0
		.amdhsa_float_round_mode_32 0
		.amdhsa_float_round_mode_16_64 0
		.amdhsa_float_denorm_mode_32 3
		.amdhsa_float_denorm_mode_16_64 3
		.amdhsa_dx10_clamp 1
		.amdhsa_ieee_mode 1
		.amdhsa_fp16_overflow 0
		.amdhsa_exception_fp_ieee_invalid_op 0
		.amdhsa_exception_fp_denorm_src 0
		.amdhsa_exception_fp_ieee_div_zero 0
		.amdhsa_exception_fp_ieee_overflow 0
		.amdhsa_exception_fp_ieee_underflow 0
		.amdhsa_exception_fp_ieee_inexact 0
		.amdhsa_exception_int_div_zero 0
	.end_amdhsa_kernel
	.section	.text._Z6kernelI14exclusive_scanfLj128ELj64ELj100EEvPKT0_PS1_S1_,"axG",@progbits,_Z6kernelI14exclusive_scanfLj128ELj64ELj100EEvPKT0_PS1_S1_,comdat
.Lfunc_end62:
	.size	_Z6kernelI14exclusive_scanfLj128ELj64ELj100EEvPKT0_PS1_S1_, .Lfunc_end62-_Z6kernelI14exclusive_scanfLj128ELj64ELj100EEvPKT0_PS1_S1_
                                        ; -- End function
	.set _Z6kernelI14exclusive_scanfLj128ELj64ELj100EEvPKT0_PS1_S1_.num_vgpr, 6
	.set _Z6kernelI14exclusive_scanfLj128ELj64ELj100EEvPKT0_PS1_S1_.num_agpr, 0
	.set _Z6kernelI14exclusive_scanfLj128ELj64ELj100EEvPKT0_PS1_S1_.numbered_sgpr, 17
	.set _Z6kernelI14exclusive_scanfLj128ELj64ELj100EEvPKT0_PS1_S1_.num_named_barrier, 0
	.set _Z6kernelI14exclusive_scanfLj128ELj64ELj100EEvPKT0_PS1_S1_.private_seg_size, 0
	.set _Z6kernelI14exclusive_scanfLj128ELj64ELj100EEvPKT0_PS1_S1_.uses_vcc, 1
	.set _Z6kernelI14exclusive_scanfLj128ELj64ELj100EEvPKT0_PS1_S1_.uses_flat_scratch, 0
	.set _Z6kernelI14exclusive_scanfLj128ELj64ELj100EEvPKT0_PS1_S1_.has_dyn_sized_stack, 0
	.set _Z6kernelI14exclusive_scanfLj128ELj64ELj100EEvPKT0_PS1_S1_.has_recursion, 0
	.set _Z6kernelI14exclusive_scanfLj128ELj64ELj100EEvPKT0_PS1_S1_.has_indirect_call, 0
	.section	.AMDGPU.csdata,"",@progbits
; Kernel info:
; codeLenInByte = 380
; TotalNumSgprs: 21
; NumVgprs: 6
; ScratchSize: 0
; MemoryBound: 0
; FloatMode: 240
; IeeeMode: 1
; LDSByteSize: 0 bytes/workgroup (compile time only)
; SGPRBlocks: 2
; VGPRBlocks: 1
; NumSGPRsForWavesPerEU: 21
; NumVGPRsForWavesPerEU: 6
; Occupancy: 10
; WaveLimiterHint : 0
; COMPUTE_PGM_RSRC2:SCRATCH_EN: 0
; COMPUTE_PGM_RSRC2:USER_SGPR: 6
; COMPUTE_PGM_RSRC2:TRAP_HANDLER: 0
; COMPUTE_PGM_RSRC2:TGID_X_EN: 1
; COMPUTE_PGM_RSRC2:TGID_Y_EN: 0
; COMPUTE_PGM_RSRC2:TGID_Z_EN: 0
; COMPUTE_PGM_RSRC2:TIDIG_COMP_CNT: 0
	.section	.text._Z6kernelI14exclusive_scanfLj256ELj64ELj100EEvPKT0_PS1_S1_,"axG",@progbits,_Z6kernelI14exclusive_scanfLj256ELj64ELj100EEvPKT0_PS1_S1_,comdat
	.protected	_Z6kernelI14exclusive_scanfLj256ELj64ELj100EEvPKT0_PS1_S1_ ; -- Begin function _Z6kernelI14exclusive_scanfLj256ELj64ELj100EEvPKT0_PS1_S1_
	.globl	_Z6kernelI14exclusive_scanfLj256ELj64ELj100EEvPKT0_PS1_S1_
	.p2align	8
	.type	_Z6kernelI14exclusive_scanfLj256ELj64ELj100EEvPKT0_PS1_S1_,@function
_Z6kernelI14exclusive_scanfLj256ELj64ELj100EEvPKT0_PS1_S1_: ; @_Z6kernelI14exclusive_scanfLj256ELj64ELj100EEvPKT0_PS1_S1_
; %bb.0:
	s_load_dword s0, s[4:5], 0x24
	s_load_dwordx4 s[12:15], s[4:5], 0x0
	s_load_dword s16, s[4:5], 0x10
	v_mov_b32_e32 v1, 0
	s_waitcnt lgkmcnt(0)
	s_and_b32 s0, s0, 0xffff
	s_mul_i32 s6, s6, s0
	v_add_u32_e32 v0, s6, v0
	v_lshlrev_b64 v[0:1], 2, v[0:1]
	v_mov_b32_e32 v3, s13
	v_add_co_u32_e32 v2, vcc, s12, v0
	v_addc_co_u32_e32 v3, vcc, v3, v1, vcc
	global_load_dword v2, v[2:3], off
	v_mbcnt_lo_u32_b32 v3, -1, 0
	v_mbcnt_hi_u32_b32 v3, -1, v3
	v_and_b32_e32 v4, 15, v3
	v_cmp_eq_u32_e32 vcc, 0, v4
	v_cmp_lt_u32_e64 s[0:1], 1, v4
	v_cmp_lt_u32_e64 s[2:3], 3, v4
	;; [unrolled: 1-line block ×3, first 2 shown]
	v_and_b32_e32 v4, 16, v3
	v_cmp_eq_u32_e64 s[6:7], 0, v4
	v_subrev_co_u32_e64 v4, s[10:11], 1, v3
	v_and_b32_e32 v5, 64, v3
	v_cmp_lt_i32_e64 s[12:13], v4, v5
	v_cmp_lt_u32_e64 s[8:9], 31, v3
	v_cndmask_b32_e64 v3, v4, v3, s[12:13]
	v_lshlrev_b32_e32 v3, 2, v3
	s_movk_i32 s12, 0x64
	v_mov_b32_e32 v4, s16
.LBB63_1:                               ; =>This Inner Loop Header: Depth=1
	s_waitcnt vmcnt(0)
	v_mov_b32_dpp v5, v2 row_shr:1 row_mask:0xf bank_mask:0xf
	v_add_f32_e32 v5, v2, v5
	v_cndmask_b32_e32 v2, v5, v2, vcc
	s_add_i32 s12, s12, -1
	s_cmp_lg_u32 s12, 0
	v_mov_b32_dpp v5, v2 row_shr:2 row_mask:0xf bank_mask:0xf
	v_add_f32_e32 v5, v2, v5
	v_cndmask_b32_e64 v2, v2, v5, s[0:1]
	s_nop 1
	v_mov_b32_dpp v5, v2 row_shr:4 row_mask:0xf bank_mask:0xf
	v_add_f32_e32 v5, v2, v5
	v_cndmask_b32_e64 v2, v2, v5, s[2:3]
	s_nop 1
	;; [unrolled: 4-line block ×3, first 2 shown]
	v_mov_b32_dpp v5, v2 row_bcast:15 row_mask:0xf bank_mask:0xf
	v_add_f32_e32 v5, v2, v5
	v_cndmask_b32_e64 v2, v5, v2, s[6:7]
	s_nop 1
	v_mov_b32_dpp v5, v2 row_bcast:31 row_mask:0xf bank_mask:0xf
	v_add_f32_e32 v5, v2, v5
	v_cndmask_b32_e64 v2, v2, v5, s[8:9]
	v_add_f32_e32 v2, s16, v2
	ds_bpermute_b32 v2, v3, v2
	s_waitcnt lgkmcnt(0)
	v_cndmask_b32_e64 v2, v2, v4, s[10:11]
	s_cbranch_scc1 .LBB63_1
; %bb.2:
	v_mov_b32_e32 v3, s15
	v_add_co_u32_e32 v0, vcc, s14, v0
	v_addc_co_u32_e32 v1, vcc, v3, v1, vcc
	global_store_dword v[0:1], v2, off
	s_endpgm
	.section	.rodata,"a",@progbits
	.p2align	6, 0x0
	.amdhsa_kernel _Z6kernelI14exclusive_scanfLj256ELj64ELj100EEvPKT0_PS1_S1_
		.amdhsa_group_segment_fixed_size 0
		.amdhsa_private_segment_fixed_size 0
		.amdhsa_kernarg_size 280
		.amdhsa_user_sgpr_count 6
		.amdhsa_user_sgpr_private_segment_buffer 1
		.amdhsa_user_sgpr_dispatch_ptr 0
		.amdhsa_user_sgpr_queue_ptr 0
		.amdhsa_user_sgpr_kernarg_segment_ptr 1
		.amdhsa_user_sgpr_dispatch_id 0
		.amdhsa_user_sgpr_flat_scratch_init 0
		.amdhsa_user_sgpr_private_segment_size 0
		.amdhsa_uses_dynamic_stack 0
		.amdhsa_system_sgpr_private_segment_wavefront_offset 0
		.amdhsa_system_sgpr_workgroup_id_x 1
		.amdhsa_system_sgpr_workgroup_id_y 0
		.amdhsa_system_sgpr_workgroup_id_z 0
		.amdhsa_system_sgpr_workgroup_info 0
		.amdhsa_system_vgpr_workitem_id 0
		.amdhsa_next_free_vgpr 6
		.amdhsa_next_free_sgpr 17
		.amdhsa_reserve_vcc 1
		.amdhsa_reserve_flat_scratch 0
		.amdhsa_float_round_mode_32 0
		.amdhsa_float_round_mode_16_64 0
		.amdhsa_float_denorm_mode_32 3
		.amdhsa_float_denorm_mode_16_64 3
		.amdhsa_dx10_clamp 1
		.amdhsa_ieee_mode 1
		.amdhsa_fp16_overflow 0
		.amdhsa_exception_fp_ieee_invalid_op 0
		.amdhsa_exception_fp_denorm_src 0
		.amdhsa_exception_fp_ieee_div_zero 0
		.amdhsa_exception_fp_ieee_overflow 0
		.amdhsa_exception_fp_ieee_underflow 0
		.amdhsa_exception_fp_ieee_inexact 0
		.amdhsa_exception_int_div_zero 0
	.end_amdhsa_kernel
	.section	.text._Z6kernelI14exclusive_scanfLj256ELj64ELj100EEvPKT0_PS1_S1_,"axG",@progbits,_Z6kernelI14exclusive_scanfLj256ELj64ELj100EEvPKT0_PS1_S1_,comdat
.Lfunc_end63:
	.size	_Z6kernelI14exclusive_scanfLj256ELj64ELj100EEvPKT0_PS1_S1_, .Lfunc_end63-_Z6kernelI14exclusive_scanfLj256ELj64ELj100EEvPKT0_PS1_S1_
                                        ; -- End function
	.set _Z6kernelI14exclusive_scanfLj256ELj64ELj100EEvPKT0_PS1_S1_.num_vgpr, 6
	.set _Z6kernelI14exclusive_scanfLj256ELj64ELj100EEvPKT0_PS1_S1_.num_agpr, 0
	.set _Z6kernelI14exclusive_scanfLj256ELj64ELj100EEvPKT0_PS1_S1_.numbered_sgpr, 17
	.set _Z6kernelI14exclusive_scanfLj256ELj64ELj100EEvPKT0_PS1_S1_.num_named_barrier, 0
	.set _Z6kernelI14exclusive_scanfLj256ELj64ELj100EEvPKT0_PS1_S1_.private_seg_size, 0
	.set _Z6kernelI14exclusive_scanfLj256ELj64ELj100EEvPKT0_PS1_S1_.uses_vcc, 1
	.set _Z6kernelI14exclusive_scanfLj256ELj64ELj100EEvPKT0_PS1_S1_.uses_flat_scratch, 0
	.set _Z6kernelI14exclusive_scanfLj256ELj64ELj100EEvPKT0_PS1_S1_.has_dyn_sized_stack, 0
	.set _Z6kernelI14exclusive_scanfLj256ELj64ELj100EEvPKT0_PS1_S1_.has_recursion, 0
	.set _Z6kernelI14exclusive_scanfLj256ELj64ELj100EEvPKT0_PS1_S1_.has_indirect_call, 0
	.section	.AMDGPU.csdata,"",@progbits
; Kernel info:
; codeLenInByte = 380
; TotalNumSgprs: 21
; NumVgprs: 6
; ScratchSize: 0
; MemoryBound: 0
; FloatMode: 240
; IeeeMode: 1
; LDSByteSize: 0 bytes/workgroup (compile time only)
; SGPRBlocks: 2
; VGPRBlocks: 1
; NumSGPRsForWavesPerEU: 21
; NumVGPRsForWavesPerEU: 6
; Occupancy: 10
; WaveLimiterHint : 0
; COMPUTE_PGM_RSRC2:SCRATCH_EN: 0
; COMPUTE_PGM_RSRC2:USER_SGPR: 6
; COMPUTE_PGM_RSRC2:TRAP_HANDLER: 0
; COMPUTE_PGM_RSRC2:TGID_X_EN: 1
; COMPUTE_PGM_RSRC2:TGID_Y_EN: 0
; COMPUTE_PGM_RSRC2:TGID_Z_EN: 0
; COMPUTE_PGM_RSRC2:TIDIG_COMP_CNT: 0
	.section	.text._Z6kernelI14exclusive_scandLj60ELj15ELj100EEvPKT0_PS1_S1_,"axG",@progbits,_Z6kernelI14exclusive_scandLj60ELj15ELj100EEvPKT0_PS1_S1_,comdat
	.protected	_Z6kernelI14exclusive_scandLj60ELj15ELj100EEvPKT0_PS1_S1_ ; -- Begin function _Z6kernelI14exclusive_scandLj60ELj15ELj100EEvPKT0_PS1_S1_
	.globl	_Z6kernelI14exclusive_scandLj60ELj15ELj100EEvPKT0_PS1_S1_
	.p2align	8
	.type	_Z6kernelI14exclusive_scandLj60ELj15ELj100EEvPKT0_PS1_S1_,@function
_Z6kernelI14exclusive_scandLj60ELj15ELj100EEvPKT0_PS1_S1_: ; @_Z6kernelI14exclusive_scandLj60ELj15ELj100EEvPKT0_PS1_S1_
; %bb.0:
	s_load_dword s0, s[4:5], 0x24
	s_load_dwordx4 s[8:11], s[4:5], 0x0
	s_load_dwordx2 s[12:13], s[4:5], 0x10
	v_mov_b32_e32 v1, 0
	v_mbcnt_lo_u32_b32 v4, -1, 0
	s_waitcnt lgkmcnt(0)
	s_and_b32 s0, s0, 0xffff
	s_mul_i32 s6, s6, s0
	v_add_u32_e32 v0, s6, v0
	v_lshlrev_b64 v[0:1], 3, v[0:1]
	v_mov_b32_e32 v3, s9
	v_add_co_u32_e32 v2, vcc, s8, v0
	v_addc_co_u32_e32 v3, vcc, v3, v1, vcc
	global_load_dwordx2 v[2:3], v[2:3], off
	v_mbcnt_hi_u32_b32 v4, -1, v4
	s_mov_b32 s0, 0x11111112
	v_mul_hi_u32 v5, v4, s0
	s_movk_i32 s8, 0x64
	v_mul_u32_u24_e32 v5, 15, v5
	v_sub_u32_e32 v5, v4, v5
	v_lshlrev_b32_e32 v4, 3, v5
	v_cmp_ne_u32_e32 vcc, 0, v5
	v_cmp_lt_u32_e64 s[0:1], 1, v5
	v_cmp_lt_u32_e64 s[2:3], 3, v5
	;; [unrolled: 1-line block ×3, first 2 shown]
	v_add_u32_e32 v5, -8, v4
	v_add_u32_e32 v6, -16, v4
	v_subrev_u32_e32 v7, 32, v4
	v_subrev_u32_e32 v8, 64, v4
	s_branch .LBB64_2
.LBB64_1:                               ;   in Loop: Header=BB64_2 Depth=1
	s_or_b64 exec, exec, s[6:7]
	s_add_i32 s8, s8, -1
	s_cmp_lg_u32 s8, 0
	s_cbranch_scc0 .LBB64_20
.LBB64_2:                               ; =>This Inner Loop Header: Depth=1
	s_waitcnt vmcnt(0)
	ds_write_b64 v4, v[2:3]
	; wave barrier
	s_and_saveexec_b64 s[6:7], vcc
	s_cbranch_execz .LBB64_4
; %bb.3:                                ;   in Loop: Header=BB64_2 Depth=1
	ds_read_b64 v[9:10], v5
	s_waitcnt lgkmcnt(0)
	v_add_f64 v[2:3], v[2:3], v[9:10]
.LBB64_4:                               ;   in Loop: Header=BB64_2 Depth=1
	s_or_b64 exec, exec, s[6:7]
	; wave barrier
	s_and_saveexec_b64 s[6:7], vcc
; %bb.5:                                ;   in Loop: Header=BB64_2 Depth=1
	ds_write_b64 v4, v[2:3]
; %bb.6:                                ;   in Loop: Header=BB64_2 Depth=1
	s_or_b64 exec, exec, s[6:7]
	; wave barrier
	s_and_saveexec_b64 s[6:7], s[0:1]
	s_cbranch_execz .LBB64_8
; %bb.7:                                ;   in Loop: Header=BB64_2 Depth=1
	ds_read_b64 v[9:10], v6
	s_waitcnt lgkmcnt(0)
	v_add_f64 v[2:3], v[2:3], v[9:10]
.LBB64_8:                               ;   in Loop: Header=BB64_2 Depth=1
	s_or_b64 exec, exec, s[6:7]
	; wave barrier
	s_and_saveexec_b64 s[6:7], s[0:1]
; %bb.9:                                ;   in Loop: Header=BB64_2 Depth=1
	ds_write_b64 v4, v[2:3]
; %bb.10:                               ;   in Loop: Header=BB64_2 Depth=1
	s_or_b64 exec, exec, s[6:7]
	; wave barrier
	s_and_saveexec_b64 s[6:7], s[2:3]
	s_cbranch_execz .LBB64_12
; %bb.11:                               ;   in Loop: Header=BB64_2 Depth=1
	ds_read_b64 v[9:10], v7
	s_waitcnt lgkmcnt(0)
	v_add_f64 v[2:3], v[2:3], v[9:10]
.LBB64_12:                              ;   in Loop: Header=BB64_2 Depth=1
	s_or_b64 exec, exec, s[6:7]
	; wave barrier
	s_and_saveexec_b64 s[6:7], s[2:3]
; %bb.13:                               ;   in Loop: Header=BB64_2 Depth=1
	ds_write_b64 v4, v[2:3]
; %bb.14:                               ;   in Loop: Header=BB64_2 Depth=1
	s_or_b64 exec, exec, s[6:7]
	; wave barrier
	s_and_saveexec_b64 s[6:7], s[4:5]
	s_cbranch_execz .LBB64_16
; %bb.15:                               ;   in Loop: Header=BB64_2 Depth=1
	ds_read_b64 v[9:10], v8
	s_waitcnt lgkmcnt(0)
	v_add_f64 v[2:3], v[2:3], v[9:10]
.LBB64_16:                              ;   in Loop: Header=BB64_2 Depth=1
	s_or_b64 exec, exec, s[6:7]
	; wave barrier
	s_and_saveexec_b64 s[6:7], s[4:5]
; %bb.17:                               ;   in Loop: Header=BB64_2 Depth=1
	ds_write_b64 v4, v[2:3]
; %bb.18:                               ;   in Loop: Header=BB64_2 Depth=1
	s_or_b64 exec, exec, s[6:7]
	v_mov_b32_e32 v2, s12
	v_mov_b32_e32 v3, s13
	; wave barrier
	s_and_saveexec_b64 s[6:7], vcc
	s_cbranch_execz .LBB64_1
; %bb.19:                               ;   in Loop: Header=BB64_2 Depth=1
	ds_read_b64 v[2:3], v5
	s_waitcnt lgkmcnt(0)
	v_add_f64 v[2:3], s[12:13], v[2:3]
	s_branch .LBB64_1
.LBB64_20:
	v_mov_b32_e32 v4, s11
	v_add_co_u32_e32 v0, vcc, s10, v0
	v_addc_co_u32_e32 v1, vcc, v4, v1, vcc
	global_store_dwordx2 v[0:1], v[2:3], off
	s_endpgm
	.section	.rodata,"a",@progbits
	.p2align	6, 0x0
	.amdhsa_kernel _Z6kernelI14exclusive_scandLj60ELj15ELj100EEvPKT0_PS1_S1_
		.amdhsa_group_segment_fixed_size 120
		.amdhsa_private_segment_fixed_size 0
		.amdhsa_kernarg_size 280
		.amdhsa_user_sgpr_count 6
		.amdhsa_user_sgpr_private_segment_buffer 1
		.amdhsa_user_sgpr_dispatch_ptr 0
		.amdhsa_user_sgpr_queue_ptr 0
		.amdhsa_user_sgpr_kernarg_segment_ptr 1
		.amdhsa_user_sgpr_dispatch_id 0
		.amdhsa_user_sgpr_flat_scratch_init 0
		.amdhsa_user_sgpr_private_segment_size 0
		.amdhsa_uses_dynamic_stack 0
		.amdhsa_system_sgpr_private_segment_wavefront_offset 0
		.amdhsa_system_sgpr_workgroup_id_x 1
		.amdhsa_system_sgpr_workgroup_id_y 0
		.amdhsa_system_sgpr_workgroup_id_z 0
		.amdhsa_system_sgpr_workgroup_info 0
		.amdhsa_system_vgpr_workitem_id 0
		.amdhsa_next_free_vgpr 11
		.amdhsa_next_free_sgpr 14
		.amdhsa_reserve_vcc 1
		.amdhsa_reserve_flat_scratch 0
		.amdhsa_float_round_mode_32 0
		.amdhsa_float_round_mode_16_64 0
		.amdhsa_float_denorm_mode_32 3
		.amdhsa_float_denorm_mode_16_64 3
		.amdhsa_dx10_clamp 1
		.amdhsa_ieee_mode 1
		.amdhsa_fp16_overflow 0
		.amdhsa_exception_fp_ieee_invalid_op 0
		.amdhsa_exception_fp_denorm_src 0
		.amdhsa_exception_fp_ieee_div_zero 0
		.amdhsa_exception_fp_ieee_overflow 0
		.amdhsa_exception_fp_ieee_underflow 0
		.amdhsa_exception_fp_ieee_inexact 0
		.amdhsa_exception_int_div_zero 0
	.end_amdhsa_kernel
	.section	.text._Z6kernelI14exclusive_scandLj60ELj15ELj100EEvPKT0_PS1_S1_,"axG",@progbits,_Z6kernelI14exclusive_scandLj60ELj15ELj100EEvPKT0_PS1_S1_,comdat
.Lfunc_end64:
	.size	_Z6kernelI14exclusive_scandLj60ELj15ELj100EEvPKT0_PS1_S1_, .Lfunc_end64-_Z6kernelI14exclusive_scandLj60ELj15ELj100EEvPKT0_PS1_S1_
                                        ; -- End function
	.set _Z6kernelI14exclusive_scandLj60ELj15ELj100EEvPKT0_PS1_S1_.num_vgpr, 11
	.set _Z6kernelI14exclusive_scandLj60ELj15ELj100EEvPKT0_PS1_S1_.num_agpr, 0
	.set _Z6kernelI14exclusive_scandLj60ELj15ELj100EEvPKT0_PS1_S1_.numbered_sgpr, 14
	.set _Z6kernelI14exclusive_scandLj60ELj15ELj100EEvPKT0_PS1_S1_.num_named_barrier, 0
	.set _Z6kernelI14exclusive_scandLj60ELj15ELj100EEvPKT0_PS1_S1_.private_seg_size, 0
	.set _Z6kernelI14exclusive_scandLj60ELj15ELj100EEvPKT0_PS1_S1_.uses_vcc, 1
	.set _Z6kernelI14exclusive_scandLj60ELj15ELj100EEvPKT0_PS1_S1_.uses_flat_scratch, 0
	.set _Z6kernelI14exclusive_scandLj60ELj15ELj100EEvPKT0_PS1_S1_.has_dyn_sized_stack, 0
	.set _Z6kernelI14exclusive_scandLj60ELj15ELj100EEvPKT0_PS1_S1_.has_recursion, 0
	.set _Z6kernelI14exclusive_scandLj60ELj15ELj100EEvPKT0_PS1_S1_.has_indirect_call, 0
	.section	.AMDGPU.csdata,"",@progbits
; Kernel info:
; codeLenInByte = 456
; TotalNumSgprs: 18
; NumVgprs: 11
; ScratchSize: 0
; MemoryBound: 0
; FloatMode: 240
; IeeeMode: 1
; LDSByteSize: 120 bytes/workgroup (compile time only)
; SGPRBlocks: 2
; VGPRBlocks: 2
; NumSGPRsForWavesPerEU: 18
; NumVGPRsForWavesPerEU: 11
; Occupancy: 10
; WaveLimiterHint : 0
; COMPUTE_PGM_RSRC2:SCRATCH_EN: 0
; COMPUTE_PGM_RSRC2:USER_SGPR: 6
; COMPUTE_PGM_RSRC2:TRAP_HANDLER: 0
; COMPUTE_PGM_RSRC2:TGID_X_EN: 1
; COMPUTE_PGM_RSRC2:TGID_Y_EN: 0
; COMPUTE_PGM_RSRC2:TGID_Z_EN: 0
; COMPUTE_PGM_RSRC2:TIDIG_COMP_CNT: 0
	.section	.text._Z6kernelI14exclusive_scandLj256ELj16ELj100EEvPKT0_PS1_S1_,"axG",@progbits,_Z6kernelI14exclusive_scandLj256ELj16ELj100EEvPKT0_PS1_S1_,comdat
	.protected	_Z6kernelI14exclusive_scandLj256ELj16ELj100EEvPKT0_PS1_S1_ ; -- Begin function _Z6kernelI14exclusive_scandLj256ELj16ELj100EEvPKT0_PS1_S1_
	.globl	_Z6kernelI14exclusive_scandLj256ELj16ELj100EEvPKT0_PS1_S1_
	.p2align	8
	.type	_Z6kernelI14exclusive_scandLj256ELj16ELj100EEvPKT0_PS1_S1_,@function
_Z6kernelI14exclusive_scandLj256ELj16ELj100EEvPKT0_PS1_S1_: ; @_Z6kernelI14exclusive_scandLj256ELj16ELj100EEvPKT0_PS1_S1_
; %bb.0:
	s_load_dword s0, s[4:5], 0x24
	s_load_dwordx4 s[8:11], s[4:5], 0x0
	s_load_dwordx2 s[12:13], s[4:5], 0x10
	v_mov_b32_e32 v1, 0
	v_mbcnt_lo_u32_b32 v4, -1, 0
	s_waitcnt lgkmcnt(0)
	s_and_b32 s0, s0, 0xffff
	s_mul_i32 s6, s6, s0
	v_add_u32_e32 v0, s6, v0
	v_lshlrev_b64 v[0:1], 3, v[0:1]
	v_mov_b32_e32 v3, s9
	v_add_co_u32_e32 v2, vcc, s8, v0
	v_addc_co_u32_e32 v3, vcc, v3, v1, vcc
	global_load_dwordx2 v[2:3], v[2:3], off
	v_mbcnt_hi_u32_b32 v4, -1, v4
	v_and_b32_e32 v5, 15, v4
	v_cmp_eq_u32_e32 vcc, 0, v5
	v_cmp_ne_u32_e64 s[0:1], 0, v5
	v_cmp_lt_u32_e64 s[2:3], 1, v5
	v_cmp_lt_u32_e64 s[4:5], 3, v5
	;; [unrolled: 1-line block ×3, first 2 shown]
	v_add_u32_e32 v5, -1, v4
	v_and_b32_e32 v6, 0x70, v4
	v_cmp_lt_i32_e64 s[8:9], v5, v6
	v_cndmask_b32_e64 v4, v5, v4, s[8:9]
	v_lshlrev_b32_e32 v6, 2, v4
	s_movk_i32 s14, 0x64
	s_branch .LBB65_2
.LBB65_1:                               ;   in Loop: Header=BB65_2 Depth=1
	s_or_b64 exec, exec, s[8:9]
	v_mov_b32_dpp v4, v2 row_shr:8 row_mask:0xf bank_mask:0xf
	v_mov_b32_dpp v5, v3 row_shr:8 row_mask:0xf bank_mask:0xf
	v_add_f64 v[4:5], v[2:3], v[4:5]
	s_add_i32 s14, s14, -1
	s_cmp_lg_u32 s14, 0
	v_cndmask_b32_e64 v3, v3, v5, s[6:7]
	v_cndmask_b32_e64 v2, v2, v4, s[6:7]
	v_add_f64 v[2:3], s[12:13], v[2:3]
	v_mov_b32_e32 v4, s13
	v_mov_b32_e32 v5, s12
	ds_bpermute_b32 v3, v6, v3
	ds_bpermute_b32 v2, v6, v2
	s_waitcnt lgkmcnt(1)
	v_cndmask_b32_e32 v3, v3, v4, vcc
	s_waitcnt lgkmcnt(0)
	v_cndmask_b32_e32 v2, v2, v5, vcc
	s_cbranch_scc0 .LBB65_8
.LBB65_2:                               ; =>This Inner Loop Header: Depth=1
	s_waitcnt vmcnt(0)
	v_mov_b32_dpp v4, v2 row_shr:1 row_mask:0xf bank_mask:0xf
	v_mov_b32_dpp v5, v3 row_shr:1 row_mask:0xf bank_mask:0xf
	s_and_saveexec_b64 s[8:9], s[0:1]
; %bb.3:                                ;   in Loop: Header=BB65_2 Depth=1
	v_add_f64 v[2:3], v[2:3], v[4:5]
; %bb.4:                                ;   in Loop: Header=BB65_2 Depth=1
	s_or_b64 exec, exec, s[8:9]
	s_nop 0
	v_mov_b32_dpp v4, v2 row_shr:2 row_mask:0xf bank_mask:0xf
	v_mov_b32_dpp v5, v3 row_shr:2 row_mask:0xf bank_mask:0xf
	s_and_saveexec_b64 s[8:9], s[2:3]
; %bb.5:                                ;   in Loop: Header=BB65_2 Depth=1
	v_add_f64 v[2:3], v[2:3], v[4:5]
; %bb.6:                                ;   in Loop: Header=BB65_2 Depth=1
	s_or_b64 exec, exec, s[8:9]
	s_nop 0
	v_mov_b32_dpp v4, v2 row_shr:4 row_mask:0xf bank_mask:0xf
	v_mov_b32_dpp v5, v3 row_shr:4 row_mask:0xf bank_mask:0xf
	s_and_saveexec_b64 s[8:9], s[4:5]
	s_cbranch_execz .LBB65_1
; %bb.7:                                ;   in Loop: Header=BB65_2 Depth=1
	v_add_f64 v[2:3], v[2:3], v[4:5]
	s_branch .LBB65_1
.LBB65_8:
	v_mov_b32_e32 v4, s11
	v_add_co_u32_e32 v0, vcc, s10, v0
	v_addc_co_u32_e32 v1, vcc, v4, v1, vcc
	global_store_dwordx2 v[0:1], v[2:3], off
	s_endpgm
	.section	.rodata,"a",@progbits
	.p2align	6, 0x0
	.amdhsa_kernel _Z6kernelI14exclusive_scandLj256ELj16ELj100EEvPKT0_PS1_S1_
		.amdhsa_group_segment_fixed_size 0
		.amdhsa_private_segment_fixed_size 0
		.amdhsa_kernarg_size 280
		.amdhsa_user_sgpr_count 6
		.amdhsa_user_sgpr_private_segment_buffer 1
		.amdhsa_user_sgpr_dispatch_ptr 0
		.amdhsa_user_sgpr_queue_ptr 0
		.amdhsa_user_sgpr_kernarg_segment_ptr 1
		.amdhsa_user_sgpr_dispatch_id 0
		.amdhsa_user_sgpr_flat_scratch_init 0
		.amdhsa_user_sgpr_private_segment_size 0
		.amdhsa_uses_dynamic_stack 0
		.amdhsa_system_sgpr_private_segment_wavefront_offset 0
		.amdhsa_system_sgpr_workgroup_id_x 1
		.amdhsa_system_sgpr_workgroup_id_y 0
		.amdhsa_system_sgpr_workgroup_id_z 0
		.amdhsa_system_sgpr_workgroup_info 0
		.amdhsa_system_vgpr_workitem_id 0
		.amdhsa_next_free_vgpr 7
		.amdhsa_next_free_sgpr 15
		.amdhsa_reserve_vcc 1
		.amdhsa_reserve_flat_scratch 0
		.amdhsa_float_round_mode_32 0
		.amdhsa_float_round_mode_16_64 0
		.amdhsa_float_denorm_mode_32 3
		.amdhsa_float_denorm_mode_16_64 3
		.amdhsa_dx10_clamp 1
		.amdhsa_ieee_mode 1
		.amdhsa_fp16_overflow 0
		.amdhsa_exception_fp_ieee_invalid_op 0
		.amdhsa_exception_fp_denorm_src 0
		.amdhsa_exception_fp_ieee_div_zero 0
		.amdhsa_exception_fp_ieee_overflow 0
		.amdhsa_exception_fp_ieee_underflow 0
		.amdhsa_exception_fp_ieee_inexact 0
		.amdhsa_exception_int_div_zero 0
	.end_amdhsa_kernel
	.section	.text._Z6kernelI14exclusive_scandLj256ELj16ELj100EEvPKT0_PS1_S1_,"axG",@progbits,_Z6kernelI14exclusive_scandLj256ELj16ELj100EEvPKT0_PS1_S1_,comdat
.Lfunc_end65:
	.size	_Z6kernelI14exclusive_scandLj256ELj16ELj100EEvPKT0_PS1_S1_, .Lfunc_end65-_Z6kernelI14exclusive_scandLj256ELj16ELj100EEvPKT0_PS1_S1_
                                        ; -- End function
	.set _Z6kernelI14exclusive_scandLj256ELj16ELj100EEvPKT0_PS1_S1_.num_vgpr, 7
	.set _Z6kernelI14exclusive_scandLj256ELj16ELj100EEvPKT0_PS1_S1_.num_agpr, 0
	.set _Z6kernelI14exclusive_scandLj256ELj16ELj100EEvPKT0_PS1_S1_.numbered_sgpr, 15
	.set _Z6kernelI14exclusive_scandLj256ELj16ELj100EEvPKT0_PS1_S1_.num_named_barrier, 0
	.set _Z6kernelI14exclusive_scandLj256ELj16ELj100EEvPKT0_PS1_S1_.private_seg_size, 0
	.set _Z6kernelI14exclusive_scandLj256ELj16ELj100EEvPKT0_PS1_S1_.uses_vcc, 1
	.set _Z6kernelI14exclusive_scandLj256ELj16ELj100EEvPKT0_PS1_S1_.uses_flat_scratch, 0
	.set _Z6kernelI14exclusive_scandLj256ELj16ELj100EEvPKT0_PS1_S1_.has_dyn_sized_stack, 0
	.set _Z6kernelI14exclusive_scandLj256ELj16ELj100EEvPKT0_PS1_S1_.has_recursion, 0
	.set _Z6kernelI14exclusive_scandLj256ELj16ELj100EEvPKT0_PS1_S1_.has_indirect_call, 0
	.section	.AMDGPU.csdata,"",@progbits
; Kernel info:
; codeLenInByte = 412
; TotalNumSgprs: 19
; NumVgprs: 7
; ScratchSize: 0
; MemoryBound: 0
; FloatMode: 240
; IeeeMode: 1
; LDSByteSize: 0 bytes/workgroup (compile time only)
; SGPRBlocks: 2
; VGPRBlocks: 1
; NumSGPRsForWavesPerEU: 19
; NumVGPRsForWavesPerEU: 7
; Occupancy: 10
; WaveLimiterHint : 0
; COMPUTE_PGM_RSRC2:SCRATCH_EN: 0
; COMPUTE_PGM_RSRC2:USER_SGPR: 6
; COMPUTE_PGM_RSRC2:TRAP_HANDLER: 0
; COMPUTE_PGM_RSRC2:TGID_X_EN: 1
; COMPUTE_PGM_RSRC2:TGID_Y_EN: 0
; COMPUTE_PGM_RSRC2:TGID_Z_EN: 0
; COMPUTE_PGM_RSRC2:TIDIG_COMP_CNT: 0
	.section	.text._Z6kernelI14exclusive_scandLj62ELj31ELj100EEvPKT0_PS1_S1_,"axG",@progbits,_Z6kernelI14exclusive_scandLj62ELj31ELj100EEvPKT0_PS1_S1_,comdat
	.protected	_Z6kernelI14exclusive_scandLj62ELj31ELj100EEvPKT0_PS1_S1_ ; -- Begin function _Z6kernelI14exclusive_scandLj62ELj31ELj100EEvPKT0_PS1_S1_
	.globl	_Z6kernelI14exclusive_scandLj62ELj31ELj100EEvPKT0_PS1_S1_
	.p2align	8
	.type	_Z6kernelI14exclusive_scandLj62ELj31ELj100EEvPKT0_PS1_S1_,@function
_Z6kernelI14exclusive_scandLj62ELj31ELj100EEvPKT0_PS1_S1_: ; @_Z6kernelI14exclusive_scandLj62ELj31ELj100EEvPKT0_PS1_S1_
; %bb.0:
	s_load_dword s0, s[4:5], 0x24
	s_load_dwordx4 s[8:11], s[4:5], 0x0
	s_load_dwordx2 s[12:13], s[4:5], 0x10
	v_mov_b32_e32 v1, 0
	v_mbcnt_lo_u32_b32 v4, -1, 0
	s_waitcnt lgkmcnt(0)
	s_and_b32 s0, s0, 0xffff
	s_mul_i32 s6, s6, s0
	v_add_u32_e32 v0, s6, v0
	v_lshlrev_b64 v[0:1], 3, v[0:1]
	v_mov_b32_e32 v3, s9
	v_add_co_u32_e32 v2, vcc, s8, v0
	v_addc_co_u32_e32 v3, vcc, v3, v1, vcc
	global_load_dwordx2 v[2:3], v[2:3], off
	v_mbcnt_hi_u32_b32 v4, -1, v4
	s_mov_b32 s0, 0x8421085
	v_mul_hi_u32 v5, v4, s0
	s_movk_i32 s14, 0x64
	v_mul_u32_u24_e32 v5, 31, v5
	v_sub_u32_e32 v5, v4, v5
	v_lshlrev_b32_e32 v4, 3, v5
	v_cmp_ne_u32_e32 vcc, 0, v5
	v_cmp_lt_u32_e64 s[0:1], 1, v5
	v_cmp_lt_u32_e64 s[2:3], 3, v5
	;; [unrolled: 1-line block ×4, first 2 shown]
	v_add_u32_e32 v5, -8, v4
	v_add_u32_e32 v6, -16, v4
	v_subrev_u32_e32 v7, 32, v4
	v_subrev_u32_e32 v8, 64, v4
	v_add_u32_e32 v9, 0xffffff80, v4
	s_branch .LBB66_2
.LBB66_1:                               ;   in Loop: Header=BB66_2 Depth=1
	s_or_b64 exec, exec, s[8:9]
	s_add_i32 s14, s14, -1
	s_cmp_lg_u32 s14, 0
	s_cbranch_scc0 .LBB66_24
.LBB66_2:                               ; =>This Inner Loop Header: Depth=1
	s_waitcnt vmcnt(0)
	ds_write_b64 v4, v[2:3]
	; wave barrier
	s_and_saveexec_b64 s[8:9], vcc
	s_cbranch_execz .LBB66_4
; %bb.3:                                ;   in Loop: Header=BB66_2 Depth=1
	ds_read_b64 v[10:11], v5
	s_waitcnt lgkmcnt(0)
	v_add_f64 v[2:3], v[2:3], v[10:11]
.LBB66_4:                               ;   in Loop: Header=BB66_2 Depth=1
	s_or_b64 exec, exec, s[8:9]
	; wave barrier
	s_and_saveexec_b64 s[8:9], vcc
; %bb.5:                                ;   in Loop: Header=BB66_2 Depth=1
	ds_write_b64 v4, v[2:3]
; %bb.6:                                ;   in Loop: Header=BB66_2 Depth=1
	s_or_b64 exec, exec, s[8:9]
	; wave barrier
	s_and_saveexec_b64 s[8:9], s[0:1]
	s_cbranch_execz .LBB66_8
; %bb.7:                                ;   in Loop: Header=BB66_2 Depth=1
	ds_read_b64 v[10:11], v6
	s_waitcnt lgkmcnt(0)
	v_add_f64 v[2:3], v[2:3], v[10:11]
.LBB66_8:                               ;   in Loop: Header=BB66_2 Depth=1
	s_or_b64 exec, exec, s[8:9]
	; wave barrier
	s_and_saveexec_b64 s[8:9], s[0:1]
; %bb.9:                                ;   in Loop: Header=BB66_2 Depth=1
	ds_write_b64 v4, v[2:3]
; %bb.10:                               ;   in Loop: Header=BB66_2 Depth=1
	s_or_b64 exec, exec, s[8:9]
	; wave barrier
	s_and_saveexec_b64 s[8:9], s[2:3]
	s_cbranch_execz .LBB66_12
; %bb.11:                               ;   in Loop: Header=BB66_2 Depth=1
	ds_read_b64 v[10:11], v7
	s_waitcnt lgkmcnt(0)
	v_add_f64 v[2:3], v[2:3], v[10:11]
.LBB66_12:                              ;   in Loop: Header=BB66_2 Depth=1
	s_or_b64 exec, exec, s[8:9]
	; wave barrier
	s_and_saveexec_b64 s[8:9], s[2:3]
; %bb.13:                               ;   in Loop: Header=BB66_2 Depth=1
	ds_write_b64 v4, v[2:3]
; %bb.14:                               ;   in Loop: Header=BB66_2 Depth=1
	s_or_b64 exec, exec, s[8:9]
	; wave barrier
	s_and_saveexec_b64 s[8:9], s[4:5]
	s_cbranch_execz .LBB66_16
; %bb.15:                               ;   in Loop: Header=BB66_2 Depth=1
	ds_read_b64 v[10:11], v8
	s_waitcnt lgkmcnt(0)
	v_add_f64 v[2:3], v[2:3], v[10:11]
.LBB66_16:                              ;   in Loop: Header=BB66_2 Depth=1
	s_or_b64 exec, exec, s[8:9]
	; wave barrier
	s_and_saveexec_b64 s[8:9], s[4:5]
; %bb.17:                               ;   in Loop: Header=BB66_2 Depth=1
	;; [unrolled: 15-line block ×3, first 2 shown]
	ds_write_b64 v4, v[2:3]
; %bb.22:                               ;   in Loop: Header=BB66_2 Depth=1
	s_or_b64 exec, exec, s[8:9]
	v_mov_b32_e32 v2, s12
	v_mov_b32_e32 v3, s13
	; wave barrier
	s_and_saveexec_b64 s[8:9], vcc
	s_cbranch_execz .LBB66_1
; %bb.23:                               ;   in Loop: Header=BB66_2 Depth=1
	ds_read_b64 v[2:3], v5
	s_waitcnt lgkmcnt(0)
	v_add_f64 v[2:3], s[12:13], v[2:3]
	s_branch .LBB66_1
.LBB66_24:
	v_mov_b32_e32 v4, s11
	v_add_co_u32_e32 v0, vcc, s10, v0
	v_addc_co_u32_e32 v1, vcc, v4, v1, vcc
	global_store_dwordx2 v[0:1], v[2:3], off
	s_endpgm
	.section	.rodata,"a",@progbits
	.p2align	6, 0x0
	.amdhsa_kernel _Z6kernelI14exclusive_scandLj62ELj31ELj100EEvPKT0_PS1_S1_
		.amdhsa_group_segment_fixed_size 248
		.amdhsa_private_segment_fixed_size 0
		.amdhsa_kernarg_size 280
		.amdhsa_user_sgpr_count 6
		.amdhsa_user_sgpr_private_segment_buffer 1
		.amdhsa_user_sgpr_dispatch_ptr 0
		.amdhsa_user_sgpr_queue_ptr 0
		.amdhsa_user_sgpr_kernarg_segment_ptr 1
		.amdhsa_user_sgpr_dispatch_id 0
		.amdhsa_user_sgpr_flat_scratch_init 0
		.amdhsa_user_sgpr_private_segment_size 0
		.amdhsa_uses_dynamic_stack 0
		.amdhsa_system_sgpr_private_segment_wavefront_offset 0
		.amdhsa_system_sgpr_workgroup_id_x 1
		.amdhsa_system_sgpr_workgroup_id_y 0
		.amdhsa_system_sgpr_workgroup_id_z 0
		.amdhsa_system_sgpr_workgroup_info 0
		.amdhsa_system_vgpr_workitem_id 0
		.amdhsa_next_free_vgpr 12
		.amdhsa_next_free_sgpr 15
		.amdhsa_reserve_vcc 1
		.amdhsa_reserve_flat_scratch 0
		.amdhsa_float_round_mode_32 0
		.amdhsa_float_round_mode_16_64 0
		.amdhsa_float_denorm_mode_32 3
		.amdhsa_float_denorm_mode_16_64 3
		.amdhsa_dx10_clamp 1
		.amdhsa_ieee_mode 1
		.amdhsa_fp16_overflow 0
		.amdhsa_exception_fp_ieee_invalid_op 0
		.amdhsa_exception_fp_denorm_src 0
		.amdhsa_exception_fp_ieee_div_zero 0
		.amdhsa_exception_fp_ieee_overflow 0
		.amdhsa_exception_fp_ieee_underflow 0
		.amdhsa_exception_fp_ieee_inexact 0
		.amdhsa_exception_int_div_zero 0
	.end_amdhsa_kernel
	.section	.text._Z6kernelI14exclusive_scandLj62ELj31ELj100EEvPKT0_PS1_S1_,"axG",@progbits,_Z6kernelI14exclusive_scandLj62ELj31ELj100EEvPKT0_PS1_S1_,comdat
.Lfunc_end66:
	.size	_Z6kernelI14exclusive_scandLj62ELj31ELj100EEvPKT0_PS1_S1_, .Lfunc_end66-_Z6kernelI14exclusive_scandLj62ELj31ELj100EEvPKT0_PS1_S1_
                                        ; -- End function
	.set _Z6kernelI14exclusive_scandLj62ELj31ELj100EEvPKT0_PS1_S1_.num_vgpr, 12
	.set _Z6kernelI14exclusive_scandLj62ELj31ELj100EEvPKT0_PS1_S1_.num_agpr, 0
	.set _Z6kernelI14exclusive_scandLj62ELj31ELj100EEvPKT0_PS1_S1_.numbered_sgpr, 15
	.set _Z6kernelI14exclusive_scandLj62ELj31ELj100EEvPKT0_PS1_S1_.num_named_barrier, 0
	.set _Z6kernelI14exclusive_scandLj62ELj31ELj100EEvPKT0_PS1_S1_.private_seg_size, 0
	.set _Z6kernelI14exclusive_scandLj62ELj31ELj100EEvPKT0_PS1_S1_.uses_vcc, 1
	.set _Z6kernelI14exclusive_scandLj62ELj31ELj100EEvPKT0_PS1_S1_.uses_flat_scratch, 0
	.set _Z6kernelI14exclusive_scandLj62ELj31ELj100EEvPKT0_PS1_S1_.has_dyn_sized_stack, 0
	.set _Z6kernelI14exclusive_scandLj62ELj31ELj100EEvPKT0_PS1_S1_.has_recursion, 0
	.set _Z6kernelI14exclusive_scandLj62ELj31ELj100EEvPKT0_PS1_S1_.has_indirect_call, 0
	.section	.AMDGPU.csdata,"",@progbits
; Kernel info:
; codeLenInByte = 520
; TotalNumSgprs: 19
; NumVgprs: 12
; ScratchSize: 0
; MemoryBound: 0
; FloatMode: 240
; IeeeMode: 1
; LDSByteSize: 248 bytes/workgroup (compile time only)
; SGPRBlocks: 2
; VGPRBlocks: 2
; NumSGPRsForWavesPerEU: 19
; NumVGPRsForWavesPerEU: 12
; Occupancy: 10
; WaveLimiterHint : 0
; COMPUTE_PGM_RSRC2:SCRATCH_EN: 0
; COMPUTE_PGM_RSRC2:USER_SGPR: 6
; COMPUTE_PGM_RSRC2:TRAP_HANDLER: 0
; COMPUTE_PGM_RSRC2:TGID_X_EN: 1
; COMPUTE_PGM_RSRC2:TGID_Y_EN: 0
; COMPUTE_PGM_RSRC2:TGID_Z_EN: 0
; COMPUTE_PGM_RSRC2:TIDIG_COMP_CNT: 0
	.section	.text._Z6kernelI14exclusive_scandLj256ELj32ELj100EEvPKT0_PS1_S1_,"axG",@progbits,_Z6kernelI14exclusive_scandLj256ELj32ELj100EEvPKT0_PS1_S1_,comdat
	.protected	_Z6kernelI14exclusive_scandLj256ELj32ELj100EEvPKT0_PS1_S1_ ; -- Begin function _Z6kernelI14exclusive_scandLj256ELj32ELj100EEvPKT0_PS1_S1_
	.globl	_Z6kernelI14exclusive_scandLj256ELj32ELj100EEvPKT0_PS1_S1_
	.p2align	8
	.type	_Z6kernelI14exclusive_scandLj256ELj32ELj100EEvPKT0_PS1_S1_,@function
_Z6kernelI14exclusive_scandLj256ELj32ELj100EEvPKT0_PS1_S1_: ; @_Z6kernelI14exclusive_scandLj256ELj32ELj100EEvPKT0_PS1_S1_
; %bb.0:
	s_load_dword s0, s[4:5], 0x24
	s_load_dwordx4 s[8:11], s[4:5], 0x0
	s_load_dwordx2 s[12:13], s[4:5], 0x10
	v_mov_b32_e32 v1, 0
	v_mbcnt_lo_u32_b32 v4, -1, 0
	s_waitcnt lgkmcnt(0)
	s_and_b32 s0, s0, 0xffff
	s_mul_i32 s6, s6, s0
	v_add_u32_e32 v0, s6, v0
	v_lshlrev_b64 v[0:1], 3, v[0:1]
	v_mov_b32_e32 v3, s9
	v_add_co_u32_e32 v2, vcc, s8, v0
	v_addc_co_u32_e32 v3, vcc, v3, v1, vcc
	global_load_dwordx2 v[2:3], v[2:3], off
	v_mbcnt_hi_u32_b32 v4, -1, v4
	v_and_b32_e32 v5, 15, v4
	v_cmp_ne_u32_e32 vcc, 0, v5
	v_cmp_lt_u32_e64 s[0:1], 1, v5
	v_cmp_lt_u32_e64 s[2:3], 3, v5
	;; [unrolled: 1-line block ×3, first 2 shown]
	v_and_b32_e32 v5, 16, v4
	v_cmp_eq_u32_e64 s[6:7], 0, v5
	v_add_u32_e32 v5, -1, v4
	v_and_b32_e32 v6, 0x60, v4
	v_cmp_lt_i32_e64 s[8:9], v5, v6
	v_cndmask_b32_e64 v5, v5, v4, s[8:9]
	v_and_b32_e32 v4, 31, v4
	v_lshlrev_b32_e32 v6, 2, v5
	v_cmp_eq_u32_e64 s[8:9], 0, v4
	s_movk_i32 s16, 0x64
	s_branch .LBB67_2
.LBB67_1:                               ;   in Loop: Header=BB67_2 Depth=1
	s_or_b64 exec, exec, s[14:15]
	v_mov_b32_dpp v4, v2 row_bcast:15 row_mask:0xf bank_mask:0xf
	v_mov_b32_dpp v5, v3 row_bcast:15 row_mask:0xf bank_mask:0xf
	v_add_f64 v[4:5], v[2:3], v[4:5]
	s_add_i32 s16, s16, -1
	s_cmp_lg_u32 s16, 0
	v_cndmask_b32_e64 v3, v5, v3, s[6:7]
	v_cndmask_b32_e64 v2, v4, v2, s[6:7]
	v_add_f64 v[2:3], s[12:13], v[2:3]
	v_mov_b32_e32 v4, s13
	v_mov_b32_e32 v5, s12
	ds_bpermute_b32 v3, v6, v3
	ds_bpermute_b32 v2, v6, v2
	s_waitcnt lgkmcnt(1)
	v_cndmask_b32_e64 v3, v3, v4, s[8:9]
	s_waitcnt lgkmcnt(0)
	v_cndmask_b32_e64 v2, v2, v5, s[8:9]
	s_cbranch_scc0 .LBB67_10
.LBB67_2:                               ; =>This Inner Loop Header: Depth=1
	s_waitcnt vmcnt(0)
	v_mov_b32_dpp v4, v2 row_shr:1 row_mask:0xf bank_mask:0xf
	v_mov_b32_dpp v5, v3 row_shr:1 row_mask:0xf bank_mask:0xf
	s_and_saveexec_b64 s[14:15], vcc
; %bb.3:                                ;   in Loop: Header=BB67_2 Depth=1
	v_add_f64 v[2:3], v[2:3], v[4:5]
; %bb.4:                                ;   in Loop: Header=BB67_2 Depth=1
	s_or_b64 exec, exec, s[14:15]
	s_nop 0
	v_mov_b32_dpp v4, v2 row_shr:2 row_mask:0xf bank_mask:0xf
	v_mov_b32_dpp v5, v3 row_shr:2 row_mask:0xf bank_mask:0xf
	s_and_saveexec_b64 s[14:15], s[0:1]
; %bb.5:                                ;   in Loop: Header=BB67_2 Depth=1
	v_add_f64 v[2:3], v[2:3], v[4:5]
; %bb.6:                                ;   in Loop: Header=BB67_2 Depth=1
	s_or_b64 exec, exec, s[14:15]
	s_nop 0
	v_mov_b32_dpp v4, v2 row_shr:4 row_mask:0xf bank_mask:0xf
	v_mov_b32_dpp v5, v3 row_shr:4 row_mask:0xf bank_mask:0xf
	s_and_saveexec_b64 s[14:15], s[2:3]
	;; [unrolled: 8-line block ×3, first 2 shown]
	s_cbranch_execz .LBB67_1
; %bb.9:                                ;   in Loop: Header=BB67_2 Depth=1
	v_add_f64 v[2:3], v[2:3], v[4:5]
	s_branch .LBB67_1
.LBB67_10:
	v_mov_b32_e32 v4, s11
	v_add_co_u32_e32 v0, vcc, s10, v0
	v_addc_co_u32_e32 v1, vcc, v4, v1, vcc
	global_store_dwordx2 v[0:1], v[2:3], off
	s_endpgm
	.section	.rodata,"a",@progbits
	.p2align	6, 0x0
	.amdhsa_kernel _Z6kernelI14exclusive_scandLj256ELj32ELj100EEvPKT0_PS1_S1_
		.amdhsa_group_segment_fixed_size 0
		.amdhsa_private_segment_fixed_size 0
		.amdhsa_kernarg_size 280
		.amdhsa_user_sgpr_count 6
		.amdhsa_user_sgpr_private_segment_buffer 1
		.amdhsa_user_sgpr_dispatch_ptr 0
		.amdhsa_user_sgpr_queue_ptr 0
		.amdhsa_user_sgpr_kernarg_segment_ptr 1
		.amdhsa_user_sgpr_dispatch_id 0
		.amdhsa_user_sgpr_flat_scratch_init 0
		.amdhsa_user_sgpr_private_segment_size 0
		.amdhsa_uses_dynamic_stack 0
		.amdhsa_system_sgpr_private_segment_wavefront_offset 0
		.amdhsa_system_sgpr_workgroup_id_x 1
		.amdhsa_system_sgpr_workgroup_id_y 0
		.amdhsa_system_sgpr_workgroup_id_z 0
		.amdhsa_system_sgpr_workgroup_info 0
		.amdhsa_system_vgpr_workitem_id 0
		.amdhsa_next_free_vgpr 7
		.amdhsa_next_free_sgpr 17
		.amdhsa_reserve_vcc 1
		.amdhsa_reserve_flat_scratch 0
		.amdhsa_float_round_mode_32 0
		.amdhsa_float_round_mode_16_64 0
		.amdhsa_float_denorm_mode_32 3
		.amdhsa_float_denorm_mode_16_64 3
		.amdhsa_dx10_clamp 1
		.amdhsa_ieee_mode 1
		.amdhsa_fp16_overflow 0
		.amdhsa_exception_fp_ieee_invalid_op 0
		.amdhsa_exception_fp_denorm_src 0
		.amdhsa_exception_fp_ieee_div_zero 0
		.amdhsa_exception_fp_ieee_overflow 0
		.amdhsa_exception_fp_ieee_underflow 0
		.amdhsa_exception_fp_ieee_inexact 0
		.amdhsa_exception_int_div_zero 0
	.end_amdhsa_kernel
	.section	.text._Z6kernelI14exclusive_scandLj256ELj32ELj100EEvPKT0_PS1_S1_,"axG",@progbits,_Z6kernelI14exclusive_scandLj256ELj32ELj100EEvPKT0_PS1_S1_,comdat
.Lfunc_end67:
	.size	_Z6kernelI14exclusive_scandLj256ELj32ELj100EEvPKT0_PS1_S1_, .Lfunc_end67-_Z6kernelI14exclusive_scandLj256ELj32ELj100EEvPKT0_PS1_S1_
                                        ; -- End function
	.set _Z6kernelI14exclusive_scandLj256ELj32ELj100EEvPKT0_PS1_S1_.num_vgpr, 7
	.set _Z6kernelI14exclusive_scandLj256ELj32ELj100EEvPKT0_PS1_S1_.num_agpr, 0
	.set _Z6kernelI14exclusive_scandLj256ELj32ELj100EEvPKT0_PS1_S1_.numbered_sgpr, 17
	.set _Z6kernelI14exclusive_scandLj256ELj32ELj100EEvPKT0_PS1_S1_.num_named_barrier, 0
	.set _Z6kernelI14exclusive_scandLj256ELj32ELj100EEvPKT0_PS1_S1_.private_seg_size, 0
	.set _Z6kernelI14exclusive_scandLj256ELj32ELj100EEvPKT0_PS1_S1_.uses_vcc, 1
	.set _Z6kernelI14exclusive_scandLj256ELj32ELj100EEvPKT0_PS1_S1_.uses_flat_scratch, 0
	.set _Z6kernelI14exclusive_scandLj256ELj32ELj100EEvPKT0_PS1_S1_.has_dyn_sized_stack, 0
	.set _Z6kernelI14exclusive_scandLj256ELj32ELj100EEvPKT0_PS1_S1_.has_recursion, 0
	.set _Z6kernelI14exclusive_scandLj256ELj32ELj100EEvPKT0_PS1_S1_.has_indirect_call, 0
	.section	.AMDGPU.csdata,"",@progbits
; Kernel info:
; codeLenInByte = 472
; TotalNumSgprs: 21
; NumVgprs: 7
; ScratchSize: 0
; MemoryBound: 0
; FloatMode: 240
; IeeeMode: 1
; LDSByteSize: 0 bytes/workgroup (compile time only)
; SGPRBlocks: 2
; VGPRBlocks: 1
; NumSGPRsForWavesPerEU: 21
; NumVGPRsForWavesPerEU: 7
; Occupancy: 10
; WaveLimiterHint : 0
; COMPUTE_PGM_RSRC2:SCRATCH_EN: 0
; COMPUTE_PGM_RSRC2:USER_SGPR: 6
; COMPUTE_PGM_RSRC2:TRAP_HANDLER: 0
; COMPUTE_PGM_RSRC2:TGID_X_EN: 1
; COMPUTE_PGM_RSRC2:TGID_Y_EN: 0
; COMPUTE_PGM_RSRC2:TGID_Z_EN: 0
; COMPUTE_PGM_RSRC2:TIDIG_COMP_CNT: 0
	.section	.text._Z6kernelI14exclusive_scandLj63ELj63ELj100EEvPKT0_PS1_S1_,"axG",@progbits,_Z6kernelI14exclusive_scandLj63ELj63ELj100EEvPKT0_PS1_S1_,comdat
	.protected	_Z6kernelI14exclusive_scandLj63ELj63ELj100EEvPKT0_PS1_S1_ ; -- Begin function _Z6kernelI14exclusive_scandLj63ELj63ELj100EEvPKT0_PS1_S1_
	.globl	_Z6kernelI14exclusive_scandLj63ELj63ELj100EEvPKT0_PS1_S1_
	.p2align	8
	.type	_Z6kernelI14exclusive_scandLj63ELj63ELj100EEvPKT0_PS1_S1_,@function
_Z6kernelI14exclusive_scandLj63ELj63ELj100EEvPKT0_PS1_S1_: ; @_Z6kernelI14exclusive_scandLj63ELj63ELj100EEvPKT0_PS1_S1_
; %bb.0:
	s_load_dword s0, s[4:5], 0x24
	s_load_dwordx4 s[8:11], s[4:5], 0x0
	s_load_dwordx2 s[12:13], s[4:5], 0x10
	v_mov_b32_e32 v1, 0
	v_mbcnt_lo_u32_b32 v4, -1, 0
	s_waitcnt lgkmcnt(0)
	s_and_b32 s0, s0, 0xffff
	s_mul_i32 s6, s6, s0
	v_add_u32_e32 v0, s6, v0
	v_lshlrev_b64 v[0:1], 3, v[0:1]
	v_mov_b32_e32 v3, s9
	v_add_co_u32_e32 v2, vcc, s8, v0
	v_addc_co_u32_e32 v3, vcc, v3, v1, vcc
	global_load_dwordx2 v[2:3], v[2:3], off
	v_mbcnt_hi_u32_b32 v4, -1, v4
	s_mov_b32 s0, 0x4104105
	v_mul_hi_u32 v5, v4, s0
	s_movk_i32 s16, 0x64
	v_mul_u32_u24_e32 v5, 63, v5
	v_sub_u32_e32 v5, v4, v5
	v_lshlrev_b32_e32 v4, 3, v5
	v_cmp_ne_u32_e32 vcc, 0, v5
	v_cmp_lt_u32_e64 s[0:1], 1, v5
	v_cmp_lt_u32_e64 s[2:3], 3, v5
	;; [unrolled: 1-line block ×5, first 2 shown]
	v_add_u32_e32 v5, -8, v4
	v_add_u32_e32 v6, -16, v4
	v_subrev_u32_e32 v7, 32, v4
	v_subrev_u32_e32 v8, 64, v4
	v_add_u32_e32 v9, 0xffffff80, v4
	v_add_u32_e32 v10, 0xffffff00, v4
	s_branch .LBB68_2
.LBB68_1:                               ;   in Loop: Header=BB68_2 Depth=1
	s_or_b64 exec, exec, s[14:15]
	s_add_i32 s16, s16, -1
	s_cmp_lg_u32 s16, 0
	s_cbranch_scc0 .LBB68_28
.LBB68_2:                               ; =>This Inner Loop Header: Depth=1
	s_waitcnt vmcnt(0)
	ds_write_b64 v4, v[2:3]
	; wave barrier
	s_and_saveexec_b64 s[14:15], vcc
	s_cbranch_execz .LBB68_4
; %bb.3:                                ;   in Loop: Header=BB68_2 Depth=1
	ds_read_b64 v[11:12], v5
	s_waitcnt lgkmcnt(0)
	v_add_f64 v[2:3], v[2:3], v[11:12]
.LBB68_4:                               ;   in Loop: Header=BB68_2 Depth=1
	s_or_b64 exec, exec, s[14:15]
	; wave barrier
	s_and_saveexec_b64 s[14:15], vcc
; %bb.5:                                ;   in Loop: Header=BB68_2 Depth=1
	ds_write_b64 v4, v[2:3]
; %bb.6:                                ;   in Loop: Header=BB68_2 Depth=1
	s_or_b64 exec, exec, s[14:15]
	; wave barrier
	s_and_saveexec_b64 s[14:15], s[0:1]
	s_cbranch_execz .LBB68_8
; %bb.7:                                ;   in Loop: Header=BB68_2 Depth=1
	ds_read_b64 v[11:12], v6
	s_waitcnt lgkmcnt(0)
	v_add_f64 v[2:3], v[2:3], v[11:12]
.LBB68_8:                               ;   in Loop: Header=BB68_2 Depth=1
	s_or_b64 exec, exec, s[14:15]
	; wave barrier
	s_and_saveexec_b64 s[14:15], s[0:1]
; %bb.9:                                ;   in Loop: Header=BB68_2 Depth=1
	ds_write_b64 v4, v[2:3]
; %bb.10:                               ;   in Loop: Header=BB68_2 Depth=1
	s_or_b64 exec, exec, s[14:15]
	; wave barrier
	s_and_saveexec_b64 s[14:15], s[2:3]
	s_cbranch_execz .LBB68_12
; %bb.11:                               ;   in Loop: Header=BB68_2 Depth=1
	ds_read_b64 v[11:12], v7
	s_waitcnt lgkmcnt(0)
	v_add_f64 v[2:3], v[2:3], v[11:12]
.LBB68_12:                              ;   in Loop: Header=BB68_2 Depth=1
	s_or_b64 exec, exec, s[14:15]
	; wave barrier
	s_and_saveexec_b64 s[14:15], s[2:3]
; %bb.13:                               ;   in Loop: Header=BB68_2 Depth=1
	ds_write_b64 v4, v[2:3]
; %bb.14:                               ;   in Loop: Header=BB68_2 Depth=1
	s_or_b64 exec, exec, s[14:15]
	; wave barrier
	s_and_saveexec_b64 s[14:15], s[4:5]
	s_cbranch_execz .LBB68_16
; %bb.15:                               ;   in Loop: Header=BB68_2 Depth=1
	ds_read_b64 v[11:12], v8
	s_waitcnt lgkmcnt(0)
	v_add_f64 v[2:3], v[2:3], v[11:12]
.LBB68_16:                              ;   in Loop: Header=BB68_2 Depth=1
	s_or_b64 exec, exec, s[14:15]
	; wave barrier
	s_and_saveexec_b64 s[14:15], s[4:5]
; %bb.17:                               ;   in Loop: Header=BB68_2 Depth=1
	;; [unrolled: 15-line block ×4, first 2 shown]
	ds_write_b64 v4, v[2:3]
; %bb.26:                               ;   in Loop: Header=BB68_2 Depth=1
	s_or_b64 exec, exec, s[14:15]
	v_mov_b32_e32 v2, s12
	v_mov_b32_e32 v3, s13
	; wave barrier
	s_and_saveexec_b64 s[14:15], vcc
	s_cbranch_execz .LBB68_1
; %bb.27:                               ;   in Loop: Header=BB68_2 Depth=1
	ds_read_b64 v[2:3], v5
	s_waitcnt lgkmcnt(0)
	v_add_f64 v[2:3], s[12:13], v[2:3]
	s_branch .LBB68_1
.LBB68_28:
	v_mov_b32_e32 v4, s11
	v_add_co_u32_e32 v0, vcc, s10, v0
	v_addc_co_u32_e32 v1, vcc, v4, v1, vcc
	global_store_dwordx2 v[0:1], v[2:3], off
	s_endpgm
	.section	.rodata,"a",@progbits
	.p2align	6, 0x0
	.amdhsa_kernel _Z6kernelI14exclusive_scandLj63ELj63ELj100EEvPKT0_PS1_S1_
		.amdhsa_group_segment_fixed_size 504
		.amdhsa_private_segment_fixed_size 0
		.amdhsa_kernarg_size 280
		.amdhsa_user_sgpr_count 6
		.amdhsa_user_sgpr_private_segment_buffer 1
		.amdhsa_user_sgpr_dispatch_ptr 0
		.amdhsa_user_sgpr_queue_ptr 0
		.amdhsa_user_sgpr_kernarg_segment_ptr 1
		.amdhsa_user_sgpr_dispatch_id 0
		.amdhsa_user_sgpr_flat_scratch_init 0
		.amdhsa_user_sgpr_private_segment_size 0
		.amdhsa_uses_dynamic_stack 0
		.amdhsa_system_sgpr_private_segment_wavefront_offset 0
		.amdhsa_system_sgpr_workgroup_id_x 1
		.amdhsa_system_sgpr_workgroup_id_y 0
		.amdhsa_system_sgpr_workgroup_id_z 0
		.amdhsa_system_sgpr_workgroup_info 0
		.amdhsa_system_vgpr_workitem_id 0
		.amdhsa_next_free_vgpr 13
		.amdhsa_next_free_sgpr 17
		.amdhsa_reserve_vcc 1
		.amdhsa_reserve_flat_scratch 0
		.amdhsa_float_round_mode_32 0
		.amdhsa_float_round_mode_16_64 0
		.amdhsa_float_denorm_mode_32 3
		.amdhsa_float_denorm_mode_16_64 3
		.amdhsa_dx10_clamp 1
		.amdhsa_ieee_mode 1
		.amdhsa_fp16_overflow 0
		.amdhsa_exception_fp_ieee_invalid_op 0
		.amdhsa_exception_fp_denorm_src 0
		.amdhsa_exception_fp_ieee_div_zero 0
		.amdhsa_exception_fp_ieee_overflow 0
		.amdhsa_exception_fp_ieee_underflow 0
		.amdhsa_exception_fp_ieee_inexact 0
		.amdhsa_exception_int_div_zero 0
	.end_amdhsa_kernel
	.section	.text._Z6kernelI14exclusive_scandLj63ELj63ELj100EEvPKT0_PS1_S1_,"axG",@progbits,_Z6kernelI14exclusive_scandLj63ELj63ELj100EEvPKT0_PS1_S1_,comdat
.Lfunc_end68:
	.size	_Z6kernelI14exclusive_scandLj63ELj63ELj100EEvPKT0_PS1_S1_, .Lfunc_end68-_Z6kernelI14exclusive_scandLj63ELj63ELj100EEvPKT0_PS1_S1_
                                        ; -- End function
	.set _Z6kernelI14exclusive_scandLj63ELj63ELj100EEvPKT0_PS1_S1_.num_vgpr, 13
	.set _Z6kernelI14exclusive_scandLj63ELj63ELj100EEvPKT0_PS1_S1_.num_agpr, 0
	.set _Z6kernelI14exclusive_scandLj63ELj63ELj100EEvPKT0_PS1_S1_.numbered_sgpr, 17
	.set _Z6kernelI14exclusive_scandLj63ELj63ELj100EEvPKT0_PS1_S1_.num_named_barrier, 0
	.set _Z6kernelI14exclusive_scandLj63ELj63ELj100EEvPKT0_PS1_S1_.private_seg_size, 0
	.set _Z6kernelI14exclusive_scandLj63ELj63ELj100EEvPKT0_PS1_S1_.uses_vcc, 1
	.set _Z6kernelI14exclusive_scandLj63ELj63ELj100EEvPKT0_PS1_S1_.uses_flat_scratch, 0
	.set _Z6kernelI14exclusive_scandLj63ELj63ELj100EEvPKT0_PS1_S1_.has_dyn_sized_stack, 0
	.set _Z6kernelI14exclusive_scandLj63ELj63ELj100EEvPKT0_PS1_S1_.has_recursion, 0
	.set _Z6kernelI14exclusive_scandLj63ELj63ELj100EEvPKT0_PS1_S1_.has_indirect_call, 0
	.section	.AMDGPU.csdata,"",@progbits
; Kernel info:
; codeLenInByte = 584
; TotalNumSgprs: 21
; NumVgprs: 13
; ScratchSize: 0
; MemoryBound: 0
; FloatMode: 240
; IeeeMode: 1
; LDSByteSize: 504 bytes/workgroup (compile time only)
; SGPRBlocks: 2
; VGPRBlocks: 3
; NumSGPRsForWavesPerEU: 21
; NumVGPRsForWavesPerEU: 13
; Occupancy: 10
; WaveLimiterHint : 0
; COMPUTE_PGM_RSRC2:SCRATCH_EN: 0
; COMPUTE_PGM_RSRC2:USER_SGPR: 6
; COMPUTE_PGM_RSRC2:TRAP_HANDLER: 0
; COMPUTE_PGM_RSRC2:TGID_X_EN: 1
; COMPUTE_PGM_RSRC2:TGID_Y_EN: 0
; COMPUTE_PGM_RSRC2:TGID_Z_EN: 0
; COMPUTE_PGM_RSRC2:TIDIG_COMP_CNT: 0
	.section	.text._Z6kernelI14exclusive_scandLj64ELj64ELj100EEvPKT0_PS1_S1_,"axG",@progbits,_Z6kernelI14exclusive_scandLj64ELj64ELj100EEvPKT0_PS1_S1_,comdat
	.protected	_Z6kernelI14exclusive_scandLj64ELj64ELj100EEvPKT0_PS1_S1_ ; -- Begin function _Z6kernelI14exclusive_scandLj64ELj64ELj100EEvPKT0_PS1_S1_
	.globl	_Z6kernelI14exclusive_scandLj64ELj64ELj100EEvPKT0_PS1_S1_
	.p2align	8
	.type	_Z6kernelI14exclusive_scandLj64ELj64ELj100EEvPKT0_PS1_S1_,@function
_Z6kernelI14exclusive_scandLj64ELj64ELj100EEvPKT0_PS1_S1_: ; @_Z6kernelI14exclusive_scandLj64ELj64ELj100EEvPKT0_PS1_S1_
; %bb.0:
	s_load_dword s0, s[4:5], 0x24
	s_load_dwordx4 s[12:15], s[4:5], 0x0
	s_load_dwordx2 s[16:17], s[4:5], 0x10
	v_mov_b32_e32 v1, 0
	v_mbcnt_lo_u32_b32 v4, -1, 0
	s_waitcnt lgkmcnt(0)
	s_and_b32 s0, s0, 0xffff
	s_mul_i32 s6, s6, s0
	v_add_u32_e32 v0, s6, v0
	v_lshlrev_b64 v[0:1], 3, v[0:1]
	v_mov_b32_e32 v3, s13
	v_add_co_u32_e32 v2, vcc, s12, v0
	v_addc_co_u32_e32 v3, vcc, v3, v1, vcc
	global_load_dwordx2 v[2:3], v[2:3], off
	v_mbcnt_hi_u32_b32 v4, -1, v4
	v_and_b32_e32 v5, 15, v4
	v_cmp_ne_u32_e32 vcc, 0, v5
	v_cmp_lt_u32_e64 s[0:1], 1, v5
	v_cmp_lt_u32_e64 s[2:3], 3, v5
	;; [unrolled: 1-line block ×3, first 2 shown]
	v_and_b32_e32 v5, 16, v4
	v_cmp_ne_u32_e64 s[6:7], 0, v5
	v_subrev_co_u32_e64 v5, s[10:11], 1, v4
	v_and_b32_e32 v6, 64, v4
	v_cmp_lt_i32_e64 s[12:13], v5, v6
	v_cmp_lt_u32_e64 s[8:9], 31, v4
	v_cndmask_b32_e64 v4, v5, v4, s[12:13]
	v_lshlrev_b32_e32 v6, 2, v4
	s_movk_i32 s18, 0x64
	s_branch .LBB69_2
.LBB69_1:                               ;   in Loop: Header=BB69_2 Depth=1
	s_or_b64 exec, exec, s[12:13]
	v_mov_b32_dpp v4, v2 row_bcast:31 row_mask:0xf bank_mask:0xf
	v_mov_b32_dpp v5, v3 row_bcast:31 row_mask:0xf bank_mask:0xf
	v_add_f64 v[4:5], v[2:3], v[4:5]
	s_add_i32 s18, s18, -1
	s_cmp_lg_u32 s18, 0
	v_cndmask_b32_e64 v3, v3, v5, s[8:9]
	v_cndmask_b32_e64 v2, v2, v4, s[8:9]
	v_add_f64 v[2:3], s[16:17], v[2:3]
	v_mov_b32_e32 v4, s17
	v_mov_b32_e32 v5, s16
	ds_bpermute_b32 v3, v6, v3
	ds_bpermute_b32 v2, v6, v2
	s_waitcnt lgkmcnt(1)
	v_cndmask_b32_e64 v3, v3, v4, s[10:11]
	s_waitcnt lgkmcnt(0)
	v_cndmask_b32_e64 v2, v2, v5, s[10:11]
	s_cbranch_scc0 .LBB69_12
.LBB69_2:                               ; =>This Inner Loop Header: Depth=1
	s_waitcnt vmcnt(0)
	v_mov_b32_dpp v4, v2 row_shr:1 row_mask:0xf bank_mask:0xf
	v_mov_b32_dpp v5, v3 row_shr:1 row_mask:0xf bank_mask:0xf
	s_and_saveexec_b64 s[12:13], vcc
; %bb.3:                                ;   in Loop: Header=BB69_2 Depth=1
	v_add_f64 v[2:3], v[2:3], v[4:5]
; %bb.4:                                ;   in Loop: Header=BB69_2 Depth=1
	s_or_b64 exec, exec, s[12:13]
	s_nop 0
	v_mov_b32_dpp v4, v2 row_shr:2 row_mask:0xf bank_mask:0xf
	v_mov_b32_dpp v5, v3 row_shr:2 row_mask:0xf bank_mask:0xf
	s_and_saveexec_b64 s[12:13], s[0:1]
; %bb.5:                                ;   in Loop: Header=BB69_2 Depth=1
	v_add_f64 v[2:3], v[2:3], v[4:5]
; %bb.6:                                ;   in Loop: Header=BB69_2 Depth=1
	s_or_b64 exec, exec, s[12:13]
	s_nop 0
	v_mov_b32_dpp v4, v2 row_shr:4 row_mask:0xf bank_mask:0xf
	v_mov_b32_dpp v5, v3 row_shr:4 row_mask:0xf bank_mask:0xf
	s_and_saveexec_b64 s[12:13], s[2:3]
	;; [unrolled: 8-line block ×3, first 2 shown]
; %bb.9:                                ;   in Loop: Header=BB69_2 Depth=1
	v_add_f64 v[2:3], v[2:3], v[4:5]
; %bb.10:                               ;   in Loop: Header=BB69_2 Depth=1
	s_or_b64 exec, exec, s[12:13]
	s_nop 0
	v_mov_b32_dpp v4, v2 row_bcast:15 row_mask:0xf bank_mask:0xf
	v_mov_b32_dpp v5, v3 row_bcast:15 row_mask:0xf bank_mask:0xf
	s_and_saveexec_b64 s[12:13], s[6:7]
	s_cbranch_execz .LBB69_1
; %bb.11:                               ;   in Loop: Header=BB69_2 Depth=1
	v_add_f64 v[2:3], v[2:3], v[4:5]
	s_branch .LBB69_1
.LBB69_12:
	v_mov_b32_e32 v4, s15
	v_add_co_u32_e32 v0, vcc, s14, v0
	v_addc_co_u32_e32 v1, vcc, v4, v1, vcc
	global_store_dwordx2 v[0:1], v[2:3], off
	s_endpgm
	.section	.rodata,"a",@progbits
	.p2align	6, 0x0
	.amdhsa_kernel _Z6kernelI14exclusive_scandLj64ELj64ELj100EEvPKT0_PS1_S1_
		.amdhsa_group_segment_fixed_size 0
		.amdhsa_private_segment_fixed_size 0
		.amdhsa_kernarg_size 280
		.amdhsa_user_sgpr_count 6
		.amdhsa_user_sgpr_private_segment_buffer 1
		.amdhsa_user_sgpr_dispatch_ptr 0
		.amdhsa_user_sgpr_queue_ptr 0
		.amdhsa_user_sgpr_kernarg_segment_ptr 1
		.amdhsa_user_sgpr_dispatch_id 0
		.amdhsa_user_sgpr_flat_scratch_init 0
		.amdhsa_user_sgpr_private_segment_size 0
		.amdhsa_uses_dynamic_stack 0
		.amdhsa_system_sgpr_private_segment_wavefront_offset 0
		.amdhsa_system_sgpr_workgroup_id_x 1
		.amdhsa_system_sgpr_workgroup_id_y 0
		.amdhsa_system_sgpr_workgroup_id_z 0
		.amdhsa_system_sgpr_workgroup_info 0
		.amdhsa_system_vgpr_workitem_id 0
		.amdhsa_next_free_vgpr 7
		.amdhsa_next_free_sgpr 19
		.amdhsa_reserve_vcc 1
		.amdhsa_reserve_flat_scratch 0
		.amdhsa_float_round_mode_32 0
		.amdhsa_float_round_mode_16_64 0
		.amdhsa_float_denorm_mode_32 3
		.amdhsa_float_denorm_mode_16_64 3
		.amdhsa_dx10_clamp 1
		.amdhsa_ieee_mode 1
		.amdhsa_fp16_overflow 0
		.amdhsa_exception_fp_ieee_invalid_op 0
		.amdhsa_exception_fp_denorm_src 0
		.amdhsa_exception_fp_ieee_div_zero 0
		.amdhsa_exception_fp_ieee_overflow 0
		.amdhsa_exception_fp_ieee_underflow 0
		.amdhsa_exception_fp_ieee_inexact 0
		.amdhsa_exception_int_div_zero 0
	.end_amdhsa_kernel
	.section	.text._Z6kernelI14exclusive_scandLj64ELj64ELj100EEvPKT0_PS1_S1_,"axG",@progbits,_Z6kernelI14exclusive_scandLj64ELj64ELj100EEvPKT0_PS1_S1_,comdat
.Lfunc_end69:
	.size	_Z6kernelI14exclusive_scandLj64ELj64ELj100EEvPKT0_PS1_S1_, .Lfunc_end69-_Z6kernelI14exclusive_scandLj64ELj64ELj100EEvPKT0_PS1_S1_
                                        ; -- End function
	.set _Z6kernelI14exclusive_scandLj64ELj64ELj100EEvPKT0_PS1_S1_.num_vgpr, 7
	.set _Z6kernelI14exclusive_scandLj64ELj64ELj100EEvPKT0_PS1_S1_.num_agpr, 0
	.set _Z6kernelI14exclusive_scandLj64ELj64ELj100EEvPKT0_PS1_S1_.numbered_sgpr, 19
	.set _Z6kernelI14exclusive_scandLj64ELj64ELj100EEvPKT0_PS1_S1_.num_named_barrier, 0
	.set _Z6kernelI14exclusive_scandLj64ELj64ELj100EEvPKT0_PS1_S1_.private_seg_size, 0
	.set _Z6kernelI14exclusive_scandLj64ELj64ELj100EEvPKT0_PS1_S1_.uses_vcc, 1
	.set _Z6kernelI14exclusive_scandLj64ELj64ELj100EEvPKT0_PS1_S1_.uses_flat_scratch, 0
	.set _Z6kernelI14exclusive_scandLj64ELj64ELj100EEvPKT0_PS1_S1_.has_dyn_sized_stack, 0
	.set _Z6kernelI14exclusive_scandLj64ELj64ELj100EEvPKT0_PS1_S1_.has_recursion, 0
	.set _Z6kernelI14exclusive_scandLj64ELj64ELj100EEvPKT0_PS1_S1_.has_indirect_call, 0
	.section	.AMDGPU.csdata,"",@progbits
; Kernel info:
; codeLenInByte = 504
; TotalNumSgprs: 23
; NumVgprs: 7
; ScratchSize: 0
; MemoryBound: 0
; FloatMode: 240
; IeeeMode: 1
; LDSByteSize: 0 bytes/workgroup (compile time only)
; SGPRBlocks: 2
; VGPRBlocks: 1
; NumSGPRsForWavesPerEU: 23
; NumVGPRsForWavesPerEU: 7
; Occupancy: 10
; WaveLimiterHint : 0
; COMPUTE_PGM_RSRC2:SCRATCH_EN: 0
; COMPUTE_PGM_RSRC2:USER_SGPR: 6
; COMPUTE_PGM_RSRC2:TRAP_HANDLER: 0
; COMPUTE_PGM_RSRC2:TGID_X_EN: 1
; COMPUTE_PGM_RSRC2:TGID_Y_EN: 0
; COMPUTE_PGM_RSRC2:TGID_Z_EN: 0
; COMPUTE_PGM_RSRC2:TIDIG_COMP_CNT: 0
	.section	.text._Z6kernelI14exclusive_scandLj128ELj64ELj100EEvPKT0_PS1_S1_,"axG",@progbits,_Z6kernelI14exclusive_scandLj128ELj64ELj100EEvPKT0_PS1_S1_,comdat
	.protected	_Z6kernelI14exclusive_scandLj128ELj64ELj100EEvPKT0_PS1_S1_ ; -- Begin function _Z6kernelI14exclusive_scandLj128ELj64ELj100EEvPKT0_PS1_S1_
	.globl	_Z6kernelI14exclusive_scandLj128ELj64ELj100EEvPKT0_PS1_S1_
	.p2align	8
	.type	_Z6kernelI14exclusive_scandLj128ELj64ELj100EEvPKT0_PS1_S1_,@function
_Z6kernelI14exclusive_scandLj128ELj64ELj100EEvPKT0_PS1_S1_: ; @_Z6kernelI14exclusive_scandLj128ELj64ELj100EEvPKT0_PS1_S1_
; %bb.0:
	s_load_dword s0, s[4:5], 0x24
	s_load_dwordx4 s[12:15], s[4:5], 0x0
	s_load_dwordx2 s[16:17], s[4:5], 0x10
	v_mov_b32_e32 v1, 0
	v_mbcnt_lo_u32_b32 v4, -1, 0
	s_waitcnt lgkmcnt(0)
	s_and_b32 s0, s0, 0xffff
	s_mul_i32 s6, s6, s0
	v_add_u32_e32 v0, s6, v0
	v_lshlrev_b64 v[0:1], 3, v[0:1]
	v_mov_b32_e32 v3, s13
	v_add_co_u32_e32 v2, vcc, s12, v0
	v_addc_co_u32_e32 v3, vcc, v3, v1, vcc
	global_load_dwordx2 v[2:3], v[2:3], off
	v_mbcnt_hi_u32_b32 v4, -1, v4
	v_and_b32_e32 v5, 15, v4
	v_cmp_ne_u32_e32 vcc, 0, v5
	v_cmp_lt_u32_e64 s[0:1], 1, v5
	v_cmp_lt_u32_e64 s[2:3], 3, v5
	;; [unrolled: 1-line block ×3, first 2 shown]
	v_and_b32_e32 v5, 16, v4
	v_cmp_ne_u32_e64 s[6:7], 0, v5
	v_subrev_co_u32_e64 v5, s[10:11], 1, v4
	v_and_b32_e32 v6, 64, v4
	v_cmp_lt_i32_e64 s[12:13], v5, v6
	v_cmp_lt_u32_e64 s[8:9], 31, v4
	v_cndmask_b32_e64 v4, v5, v4, s[12:13]
	v_lshlrev_b32_e32 v6, 2, v4
	s_movk_i32 s18, 0x64
	s_branch .LBB70_2
.LBB70_1:                               ;   in Loop: Header=BB70_2 Depth=1
	s_or_b64 exec, exec, s[12:13]
	v_mov_b32_dpp v4, v2 row_bcast:31 row_mask:0xf bank_mask:0xf
	v_mov_b32_dpp v5, v3 row_bcast:31 row_mask:0xf bank_mask:0xf
	v_add_f64 v[4:5], v[2:3], v[4:5]
	s_add_i32 s18, s18, -1
	s_cmp_lg_u32 s18, 0
	v_cndmask_b32_e64 v3, v3, v5, s[8:9]
	v_cndmask_b32_e64 v2, v2, v4, s[8:9]
	v_add_f64 v[2:3], s[16:17], v[2:3]
	v_mov_b32_e32 v4, s17
	v_mov_b32_e32 v5, s16
	ds_bpermute_b32 v3, v6, v3
	ds_bpermute_b32 v2, v6, v2
	s_waitcnt lgkmcnt(1)
	v_cndmask_b32_e64 v3, v3, v4, s[10:11]
	s_waitcnt lgkmcnt(0)
	v_cndmask_b32_e64 v2, v2, v5, s[10:11]
	s_cbranch_scc0 .LBB70_12
.LBB70_2:                               ; =>This Inner Loop Header: Depth=1
	s_waitcnt vmcnt(0)
	v_mov_b32_dpp v4, v2 row_shr:1 row_mask:0xf bank_mask:0xf
	v_mov_b32_dpp v5, v3 row_shr:1 row_mask:0xf bank_mask:0xf
	s_and_saveexec_b64 s[12:13], vcc
; %bb.3:                                ;   in Loop: Header=BB70_2 Depth=1
	v_add_f64 v[2:3], v[2:3], v[4:5]
; %bb.4:                                ;   in Loop: Header=BB70_2 Depth=1
	s_or_b64 exec, exec, s[12:13]
	s_nop 0
	v_mov_b32_dpp v4, v2 row_shr:2 row_mask:0xf bank_mask:0xf
	v_mov_b32_dpp v5, v3 row_shr:2 row_mask:0xf bank_mask:0xf
	s_and_saveexec_b64 s[12:13], s[0:1]
; %bb.5:                                ;   in Loop: Header=BB70_2 Depth=1
	v_add_f64 v[2:3], v[2:3], v[4:5]
; %bb.6:                                ;   in Loop: Header=BB70_2 Depth=1
	s_or_b64 exec, exec, s[12:13]
	s_nop 0
	v_mov_b32_dpp v4, v2 row_shr:4 row_mask:0xf bank_mask:0xf
	v_mov_b32_dpp v5, v3 row_shr:4 row_mask:0xf bank_mask:0xf
	s_and_saveexec_b64 s[12:13], s[2:3]
	;; [unrolled: 8-line block ×3, first 2 shown]
; %bb.9:                                ;   in Loop: Header=BB70_2 Depth=1
	v_add_f64 v[2:3], v[2:3], v[4:5]
; %bb.10:                               ;   in Loop: Header=BB70_2 Depth=1
	s_or_b64 exec, exec, s[12:13]
	s_nop 0
	v_mov_b32_dpp v4, v2 row_bcast:15 row_mask:0xf bank_mask:0xf
	v_mov_b32_dpp v5, v3 row_bcast:15 row_mask:0xf bank_mask:0xf
	s_and_saveexec_b64 s[12:13], s[6:7]
	s_cbranch_execz .LBB70_1
; %bb.11:                               ;   in Loop: Header=BB70_2 Depth=1
	v_add_f64 v[2:3], v[2:3], v[4:5]
	s_branch .LBB70_1
.LBB70_12:
	v_mov_b32_e32 v4, s15
	v_add_co_u32_e32 v0, vcc, s14, v0
	v_addc_co_u32_e32 v1, vcc, v4, v1, vcc
	global_store_dwordx2 v[0:1], v[2:3], off
	s_endpgm
	.section	.rodata,"a",@progbits
	.p2align	6, 0x0
	.amdhsa_kernel _Z6kernelI14exclusive_scandLj128ELj64ELj100EEvPKT0_PS1_S1_
		.amdhsa_group_segment_fixed_size 0
		.amdhsa_private_segment_fixed_size 0
		.amdhsa_kernarg_size 280
		.amdhsa_user_sgpr_count 6
		.amdhsa_user_sgpr_private_segment_buffer 1
		.amdhsa_user_sgpr_dispatch_ptr 0
		.amdhsa_user_sgpr_queue_ptr 0
		.amdhsa_user_sgpr_kernarg_segment_ptr 1
		.amdhsa_user_sgpr_dispatch_id 0
		.amdhsa_user_sgpr_flat_scratch_init 0
		.amdhsa_user_sgpr_private_segment_size 0
		.amdhsa_uses_dynamic_stack 0
		.amdhsa_system_sgpr_private_segment_wavefront_offset 0
		.amdhsa_system_sgpr_workgroup_id_x 1
		.amdhsa_system_sgpr_workgroup_id_y 0
		.amdhsa_system_sgpr_workgroup_id_z 0
		.amdhsa_system_sgpr_workgroup_info 0
		.amdhsa_system_vgpr_workitem_id 0
		.amdhsa_next_free_vgpr 7
		.amdhsa_next_free_sgpr 19
		.amdhsa_reserve_vcc 1
		.amdhsa_reserve_flat_scratch 0
		.amdhsa_float_round_mode_32 0
		.amdhsa_float_round_mode_16_64 0
		.amdhsa_float_denorm_mode_32 3
		.amdhsa_float_denorm_mode_16_64 3
		.amdhsa_dx10_clamp 1
		.amdhsa_ieee_mode 1
		.amdhsa_fp16_overflow 0
		.amdhsa_exception_fp_ieee_invalid_op 0
		.amdhsa_exception_fp_denorm_src 0
		.amdhsa_exception_fp_ieee_div_zero 0
		.amdhsa_exception_fp_ieee_overflow 0
		.amdhsa_exception_fp_ieee_underflow 0
		.amdhsa_exception_fp_ieee_inexact 0
		.amdhsa_exception_int_div_zero 0
	.end_amdhsa_kernel
	.section	.text._Z6kernelI14exclusive_scandLj128ELj64ELj100EEvPKT0_PS1_S1_,"axG",@progbits,_Z6kernelI14exclusive_scandLj128ELj64ELj100EEvPKT0_PS1_S1_,comdat
.Lfunc_end70:
	.size	_Z6kernelI14exclusive_scandLj128ELj64ELj100EEvPKT0_PS1_S1_, .Lfunc_end70-_Z6kernelI14exclusive_scandLj128ELj64ELj100EEvPKT0_PS1_S1_
                                        ; -- End function
	.set _Z6kernelI14exclusive_scandLj128ELj64ELj100EEvPKT0_PS1_S1_.num_vgpr, 7
	.set _Z6kernelI14exclusive_scandLj128ELj64ELj100EEvPKT0_PS1_S1_.num_agpr, 0
	.set _Z6kernelI14exclusive_scandLj128ELj64ELj100EEvPKT0_PS1_S1_.numbered_sgpr, 19
	.set _Z6kernelI14exclusive_scandLj128ELj64ELj100EEvPKT0_PS1_S1_.num_named_barrier, 0
	.set _Z6kernelI14exclusive_scandLj128ELj64ELj100EEvPKT0_PS1_S1_.private_seg_size, 0
	.set _Z6kernelI14exclusive_scandLj128ELj64ELj100EEvPKT0_PS1_S1_.uses_vcc, 1
	.set _Z6kernelI14exclusive_scandLj128ELj64ELj100EEvPKT0_PS1_S1_.uses_flat_scratch, 0
	.set _Z6kernelI14exclusive_scandLj128ELj64ELj100EEvPKT0_PS1_S1_.has_dyn_sized_stack, 0
	.set _Z6kernelI14exclusive_scandLj128ELj64ELj100EEvPKT0_PS1_S1_.has_recursion, 0
	.set _Z6kernelI14exclusive_scandLj128ELj64ELj100EEvPKT0_PS1_S1_.has_indirect_call, 0
	.section	.AMDGPU.csdata,"",@progbits
; Kernel info:
; codeLenInByte = 504
; TotalNumSgprs: 23
; NumVgprs: 7
; ScratchSize: 0
; MemoryBound: 0
; FloatMode: 240
; IeeeMode: 1
; LDSByteSize: 0 bytes/workgroup (compile time only)
; SGPRBlocks: 2
; VGPRBlocks: 1
; NumSGPRsForWavesPerEU: 23
; NumVGPRsForWavesPerEU: 7
; Occupancy: 10
; WaveLimiterHint : 0
; COMPUTE_PGM_RSRC2:SCRATCH_EN: 0
; COMPUTE_PGM_RSRC2:USER_SGPR: 6
; COMPUTE_PGM_RSRC2:TRAP_HANDLER: 0
; COMPUTE_PGM_RSRC2:TGID_X_EN: 1
; COMPUTE_PGM_RSRC2:TGID_Y_EN: 0
; COMPUTE_PGM_RSRC2:TGID_Z_EN: 0
; COMPUTE_PGM_RSRC2:TIDIG_COMP_CNT: 0
	.section	.text._Z6kernelI14exclusive_scandLj256ELj64ELj100EEvPKT0_PS1_S1_,"axG",@progbits,_Z6kernelI14exclusive_scandLj256ELj64ELj100EEvPKT0_PS1_S1_,comdat
	.protected	_Z6kernelI14exclusive_scandLj256ELj64ELj100EEvPKT0_PS1_S1_ ; -- Begin function _Z6kernelI14exclusive_scandLj256ELj64ELj100EEvPKT0_PS1_S1_
	.globl	_Z6kernelI14exclusive_scandLj256ELj64ELj100EEvPKT0_PS1_S1_
	.p2align	8
	.type	_Z6kernelI14exclusive_scandLj256ELj64ELj100EEvPKT0_PS1_S1_,@function
_Z6kernelI14exclusive_scandLj256ELj64ELj100EEvPKT0_PS1_S1_: ; @_Z6kernelI14exclusive_scandLj256ELj64ELj100EEvPKT0_PS1_S1_
; %bb.0:
	s_load_dword s0, s[4:5], 0x24
	s_load_dwordx4 s[12:15], s[4:5], 0x0
	s_load_dwordx2 s[16:17], s[4:5], 0x10
	v_mov_b32_e32 v1, 0
	v_mbcnt_lo_u32_b32 v4, -1, 0
	s_waitcnt lgkmcnt(0)
	s_and_b32 s0, s0, 0xffff
	s_mul_i32 s6, s6, s0
	v_add_u32_e32 v0, s6, v0
	v_lshlrev_b64 v[0:1], 3, v[0:1]
	v_mov_b32_e32 v3, s13
	v_add_co_u32_e32 v2, vcc, s12, v0
	v_addc_co_u32_e32 v3, vcc, v3, v1, vcc
	global_load_dwordx2 v[2:3], v[2:3], off
	v_mbcnt_hi_u32_b32 v4, -1, v4
	v_and_b32_e32 v5, 15, v4
	v_cmp_ne_u32_e32 vcc, 0, v5
	v_cmp_lt_u32_e64 s[0:1], 1, v5
	v_cmp_lt_u32_e64 s[2:3], 3, v5
	;; [unrolled: 1-line block ×3, first 2 shown]
	v_and_b32_e32 v5, 16, v4
	v_cmp_ne_u32_e64 s[6:7], 0, v5
	v_subrev_co_u32_e64 v5, s[10:11], 1, v4
	v_and_b32_e32 v6, 64, v4
	v_cmp_lt_i32_e64 s[12:13], v5, v6
	v_cmp_lt_u32_e64 s[8:9], 31, v4
	v_cndmask_b32_e64 v4, v5, v4, s[12:13]
	v_lshlrev_b32_e32 v6, 2, v4
	s_movk_i32 s18, 0x64
	s_branch .LBB71_2
.LBB71_1:                               ;   in Loop: Header=BB71_2 Depth=1
	s_or_b64 exec, exec, s[12:13]
	v_mov_b32_dpp v4, v2 row_bcast:31 row_mask:0xf bank_mask:0xf
	v_mov_b32_dpp v5, v3 row_bcast:31 row_mask:0xf bank_mask:0xf
	v_add_f64 v[4:5], v[2:3], v[4:5]
	s_add_i32 s18, s18, -1
	s_cmp_lg_u32 s18, 0
	v_cndmask_b32_e64 v3, v3, v5, s[8:9]
	v_cndmask_b32_e64 v2, v2, v4, s[8:9]
	v_add_f64 v[2:3], s[16:17], v[2:3]
	v_mov_b32_e32 v4, s17
	v_mov_b32_e32 v5, s16
	ds_bpermute_b32 v3, v6, v3
	ds_bpermute_b32 v2, v6, v2
	s_waitcnt lgkmcnt(1)
	v_cndmask_b32_e64 v3, v3, v4, s[10:11]
	s_waitcnt lgkmcnt(0)
	v_cndmask_b32_e64 v2, v2, v5, s[10:11]
	s_cbranch_scc0 .LBB71_12
.LBB71_2:                               ; =>This Inner Loop Header: Depth=1
	s_waitcnt vmcnt(0)
	v_mov_b32_dpp v4, v2 row_shr:1 row_mask:0xf bank_mask:0xf
	v_mov_b32_dpp v5, v3 row_shr:1 row_mask:0xf bank_mask:0xf
	s_and_saveexec_b64 s[12:13], vcc
; %bb.3:                                ;   in Loop: Header=BB71_2 Depth=1
	v_add_f64 v[2:3], v[2:3], v[4:5]
; %bb.4:                                ;   in Loop: Header=BB71_2 Depth=1
	s_or_b64 exec, exec, s[12:13]
	s_nop 0
	v_mov_b32_dpp v4, v2 row_shr:2 row_mask:0xf bank_mask:0xf
	v_mov_b32_dpp v5, v3 row_shr:2 row_mask:0xf bank_mask:0xf
	s_and_saveexec_b64 s[12:13], s[0:1]
; %bb.5:                                ;   in Loop: Header=BB71_2 Depth=1
	v_add_f64 v[2:3], v[2:3], v[4:5]
; %bb.6:                                ;   in Loop: Header=BB71_2 Depth=1
	s_or_b64 exec, exec, s[12:13]
	s_nop 0
	v_mov_b32_dpp v4, v2 row_shr:4 row_mask:0xf bank_mask:0xf
	v_mov_b32_dpp v5, v3 row_shr:4 row_mask:0xf bank_mask:0xf
	s_and_saveexec_b64 s[12:13], s[2:3]
	;; [unrolled: 8-line block ×3, first 2 shown]
; %bb.9:                                ;   in Loop: Header=BB71_2 Depth=1
	v_add_f64 v[2:3], v[2:3], v[4:5]
; %bb.10:                               ;   in Loop: Header=BB71_2 Depth=1
	s_or_b64 exec, exec, s[12:13]
	s_nop 0
	v_mov_b32_dpp v4, v2 row_bcast:15 row_mask:0xf bank_mask:0xf
	v_mov_b32_dpp v5, v3 row_bcast:15 row_mask:0xf bank_mask:0xf
	s_and_saveexec_b64 s[12:13], s[6:7]
	s_cbranch_execz .LBB71_1
; %bb.11:                               ;   in Loop: Header=BB71_2 Depth=1
	v_add_f64 v[2:3], v[2:3], v[4:5]
	s_branch .LBB71_1
.LBB71_12:
	v_mov_b32_e32 v4, s15
	v_add_co_u32_e32 v0, vcc, s14, v0
	v_addc_co_u32_e32 v1, vcc, v4, v1, vcc
	global_store_dwordx2 v[0:1], v[2:3], off
	s_endpgm
	.section	.rodata,"a",@progbits
	.p2align	6, 0x0
	.amdhsa_kernel _Z6kernelI14exclusive_scandLj256ELj64ELj100EEvPKT0_PS1_S1_
		.amdhsa_group_segment_fixed_size 0
		.amdhsa_private_segment_fixed_size 0
		.amdhsa_kernarg_size 280
		.amdhsa_user_sgpr_count 6
		.amdhsa_user_sgpr_private_segment_buffer 1
		.amdhsa_user_sgpr_dispatch_ptr 0
		.amdhsa_user_sgpr_queue_ptr 0
		.amdhsa_user_sgpr_kernarg_segment_ptr 1
		.amdhsa_user_sgpr_dispatch_id 0
		.amdhsa_user_sgpr_flat_scratch_init 0
		.amdhsa_user_sgpr_private_segment_size 0
		.amdhsa_uses_dynamic_stack 0
		.amdhsa_system_sgpr_private_segment_wavefront_offset 0
		.amdhsa_system_sgpr_workgroup_id_x 1
		.amdhsa_system_sgpr_workgroup_id_y 0
		.amdhsa_system_sgpr_workgroup_id_z 0
		.amdhsa_system_sgpr_workgroup_info 0
		.amdhsa_system_vgpr_workitem_id 0
		.amdhsa_next_free_vgpr 7
		.amdhsa_next_free_sgpr 19
		.amdhsa_reserve_vcc 1
		.amdhsa_reserve_flat_scratch 0
		.amdhsa_float_round_mode_32 0
		.amdhsa_float_round_mode_16_64 0
		.amdhsa_float_denorm_mode_32 3
		.amdhsa_float_denorm_mode_16_64 3
		.amdhsa_dx10_clamp 1
		.amdhsa_ieee_mode 1
		.amdhsa_fp16_overflow 0
		.amdhsa_exception_fp_ieee_invalid_op 0
		.amdhsa_exception_fp_denorm_src 0
		.amdhsa_exception_fp_ieee_div_zero 0
		.amdhsa_exception_fp_ieee_overflow 0
		.amdhsa_exception_fp_ieee_underflow 0
		.amdhsa_exception_fp_ieee_inexact 0
		.amdhsa_exception_int_div_zero 0
	.end_amdhsa_kernel
	.section	.text._Z6kernelI14exclusive_scandLj256ELj64ELj100EEvPKT0_PS1_S1_,"axG",@progbits,_Z6kernelI14exclusive_scandLj256ELj64ELj100EEvPKT0_PS1_S1_,comdat
.Lfunc_end71:
	.size	_Z6kernelI14exclusive_scandLj256ELj64ELj100EEvPKT0_PS1_S1_, .Lfunc_end71-_Z6kernelI14exclusive_scandLj256ELj64ELj100EEvPKT0_PS1_S1_
                                        ; -- End function
	.set _Z6kernelI14exclusive_scandLj256ELj64ELj100EEvPKT0_PS1_S1_.num_vgpr, 7
	.set _Z6kernelI14exclusive_scandLj256ELj64ELj100EEvPKT0_PS1_S1_.num_agpr, 0
	.set _Z6kernelI14exclusive_scandLj256ELj64ELj100EEvPKT0_PS1_S1_.numbered_sgpr, 19
	.set _Z6kernelI14exclusive_scandLj256ELj64ELj100EEvPKT0_PS1_S1_.num_named_barrier, 0
	.set _Z6kernelI14exclusive_scandLj256ELj64ELj100EEvPKT0_PS1_S1_.private_seg_size, 0
	.set _Z6kernelI14exclusive_scandLj256ELj64ELj100EEvPKT0_PS1_S1_.uses_vcc, 1
	.set _Z6kernelI14exclusive_scandLj256ELj64ELj100EEvPKT0_PS1_S1_.uses_flat_scratch, 0
	.set _Z6kernelI14exclusive_scandLj256ELj64ELj100EEvPKT0_PS1_S1_.has_dyn_sized_stack, 0
	.set _Z6kernelI14exclusive_scandLj256ELj64ELj100EEvPKT0_PS1_S1_.has_recursion, 0
	.set _Z6kernelI14exclusive_scandLj256ELj64ELj100EEvPKT0_PS1_S1_.has_indirect_call, 0
	.section	.AMDGPU.csdata,"",@progbits
; Kernel info:
; codeLenInByte = 504
; TotalNumSgprs: 23
; NumVgprs: 7
; ScratchSize: 0
; MemoryBound: 0
; FloatMode: 240
; IeeeMode: 1
; LDSByteSize: 0 bytes/workgroup (compile time only)
; SGPRBlocks: 2
; VGPRBlocks: 1
; NumSGPRsForWavesPerEU: 23
; NumVGPRsForWavesPerEU: 7
; Occupancy: 10
; WaveLimiterHint : 0
; COMPUTE_PGM_RSRC2:SCRATCH_EN: 0
; COMPUTE_PGM_RSRC2:USER_SGPR: 6
; COMPUTE_PGM_RSRC2:TRAP_HANDLER: 0
; COMPUTE_PGM_RSRC2:TGID_X_EN: 1
; COMPUTE_PGM_RSRC2:TGID_Y_EN: 0
; COMPUTE_PGM_RSRC2:TGID_Z_EN: 0
; COMPUTE_PGM_RSRC2:TIDIG_COMP_CNT: 0
	.section	.text._Z6kernelI14exclusive_scanaLj60ELj15ELj100EEvPKT0_PS1_S1_,"axG",@progbits,_Z6kernelI14exclusive_scanaLj60ELj15ELj100EEvPKT0_PS1_S1_,comdat
	.protected	_Z6kernelI14exclusive_scanaLj60ELj15ELj100EEvPKT0_PS1_S1_ ; -- Begin function _Z6kernelI14exclusive_scanaLj60ELj15ELj100EEvPKT0_PS1_S1_
	.globl	_Z6kernelI14exclusive_scanaLj60ELj15ELj100EEvPKT0_PS1_S1_
	.p2align	8
	.type	_Z6kernelI14exclusive_scanaLj60ELj15ELj100EEvPKT0_PS1_S1_,@function
_Z6kernelI14exclusive_scanaLj60ELj15ELj100EEvPKT0_PS1_S1_: ; @_Z6kernelI14exclusive_scanaLj60ELj15ELj100EEvPKT0_PS1_S1_
; %bb.0:
	s_load_dword s0, s[4:5], 0x24
	s_load_dwordx4 s[8:11], s[4:5], 0x0
	s_load_dword s12, s[4:5], 0x10
	v_mbcnt_lo_u32_b32 v2, -1, 0
	v_mbcnt_hi_u32_b32 v2, -1, v2
	s_waitcnt lgkmcnt(0)
	s_and_b32 s0, s0, 0xffff
	s_mul_i32 s6, s6, s0
	v_add_u32_e32 v0, s6, v0
	global_load_ubyte v1, v0, s[8:9]
	s_mov_b32 s0, 0x11111112
	v_mul_hi_u32 v3, v2, s0
	s_movk_i32 s8, 0x64
	v_mul_u32_u24_e32 v3, 15, v3
	v_sub_u32_e32 v2, v2, v3
	v_cmp_ne_u32_e32 vcc, 0, v2
	v_cmp_lt_u32_e64 s[0:1], 1, v2
	v_cmp_lt_u32_e64 s[2:3], 3, v2
	;; [unrolled: 1-line block ×3, first 2 shown]
	v_add_u32_e32 v3, -1, v2
	v_add_u32_e32 v4, -2, v2
	;; [unrolled: 1-line block ×4, first 2 shown]
	s_branch .LBB72_2
.LBB72_1:                               ;   in Loop: Header=BB72_2 Depth=1
	s_or_b64 exec, exec, s[6:7]
	s_add_i32 s8, s8, -1
	s_cmp_lg_u32 s8, 0
	s_cbranch_scc0 .LBB72_20
.LBB72_2:                               ; =>This Inner Loop Header: Depth=1
	s_waitcnt vmcnt(0)
	ds_write_b8 v2, v1
	; wave barrier
	s_and_saveexec_b64 s[6:7], vcc
	s_cbranch_execz .LBB72_4
; %bb.3:                                ;   in Loop: Header=BB72_2 Depth=1
	ds_read_u8 v7, v3
	s_waitcnt lgkmcnt(0)
	v_add_u16_e32 v1, v7, v1
.LBB72_4:                               ;   in Loop: Header=BB72_2 Depth=1
	s_or_b64 exec, exec, s[6:7]
	; wave barrier
	s_and_saveexec_b64 s[6:7], vcc
; %bb.5:                                ;   in Loop: Header=BB72_2 Depth=1
	ds_write_b8 v2, v1
; %bb.6:                                ;   in Loop: Header=BB72_2 Depth=1
	s_or_b64 exec, exec, s[6:7]
	; wave barrier
	s_and_saveexec_b64 s[6:7], s[0:1]
	s_cbranch_execz .LBB72_8
; %bb.7:                                ;   in Loop: Header=BB72_2 Depth=1
	ds_read_u8 v7, v4
	s_waitcnt lgkmcnt(0)
	v_add_u16_e32 v1, v7, v1
.LBB72_8:                               ;   in Loop: Header=BB72_2 Depth=1
	s_or_b64 exec, exec, s[6:7]
	; wave barrier
	s_and_saveexec_b64 s[6:7], s[0:1]
; %bb.9:                                ;   in Loop: Header=BB72_2 Depth=1
	ds_write_b8 v2, v1
; %bb.10:                               ;   in Loop: Header=BB72_2 Depth=1
	s_or_b64 exec, exec, s[6:7]
	; wave barrier
	s_and_saveexec_b64 s[6:7], s[2:3]
	s_cbranch_execz .LBB72_12
; %bb.11:                               ;   in Loop: Header=BB72_2 Depth=1
	ds_read_u8 v7, v5
	s_waitcnt lgkmcnt(0)
	v_add_u16_e32 v1, v7, v1
.LBB72_12:                              ;   in Loop: Header=BB72_2 Depth=1
	s_or_b64 exec, exec, s[6:7]
	; wave barrier
	s_and_saveexec_b64 s[6:7], s[2:3]
; %bb.13:                               ;   in Loop: Header=BB72_2 Depth=1
	ds_write_b8 v2, v1
; %bb.14:                               ;   in Loop: Header=BB72_2 Depth=1
	s_or_b64 exec, exec, s[6:7]
	; wave barrier
	s_and_saveexec_b64 s[6:7], s[4:5]
	s_cbranch_execz .LBB72_16
; %bb.15:                               ;   in Loop: Header=BB72_2 Depth=1
	ds_read_u8 v7, v6
	s_waitcnt lgkmcnt(0)
	v_add_u16_e32 v1, v7, v1
.LBB72_16:                              ;   in Loop: Header=BB72_2 Depth=1
	s_or_b64 exec, exec, s[6:7]
	; wave barrier
	s_and_saveexec_b64 s[6:7], s[4:5]
; %bb.17:                               ;   in Loop: Header=BB72_2 Depth=1
	ds_write_b8 v2, v1
; %bb.18:                               ;   in Loop: Header=BB72_2 Depth=1
	s_or_b64 exec, exec, s[6:7]
	v_mov_b32_e32 v1, s12
	; wave barrier
	s_and_saveexec_b64 s[6:7], vcc
	s_cbranch_execz .LBB72_1
; %bb.19:                               ;   in Loop: Header=BB72_2 Depth=1
	ds_read_u8 v1, v3
	s_waitcnt lgkmcnt(0)
	v_add_u16_e32 v1, s12, v1
	s_branch .LBB72_1
.LBB72_20:
	v_mov_b32_e32 v3, s11
	v_add_co_u32_e32 v2, vcc, s10, v0
	v_addc_co_u32_e32 v3, vcc, 0, v3, vcc
	global_store_byte v[2:3], v1, off
	s_endpgm
	.section	.rodata,"a",@progbits
	.p2align	6, 0x0
	.amdhsa_kernel _Z6kernelI14exclusive_scanaLj60ELj15ELj100EEvPKT0_PS1_S1_
		.amdhsa_group_segment_fixed_size 15
		.amdhsa_private_segment_fixed_size 0
		.amdhsa_kernarg_size 280
		.amdhsa_user_sgpr_count 6
		.amdhsa_user_sgpr_private_segment_buffer 1
		.amdhsa_user_sgpr_dispatch_ptr 0
		.amdhsa_user_sgpr_queue_ptr 0
		.amdhsa_user_sgpr_kernarg_segment_ptr 1
		.amdhsa_user_sgpr_dispatch_id 0
		.amdhsa_user_sgpr_flat_scratch_init 0
		.amdhsa_user_sgpr_private_segment_size 0
		.amdhsa_uses_dynamic_stack 0
		.amdhsa_system_sgpr_private_segment_wavefront_offset 0
		.amdhsa_system_sgpr_workgroup_id_x 1
		.amdhsa_system_sgpr_workgroup_id_y 0
		.amdhsa_system_sgpr_workgroup_id_z 0
		.amdhsa_system_sgpr_workgroup_info 0
		.amdhsa_system_vgpr_workitem_id 0
		.amdhsa_next_free_vgpr 8
		.amdhsa_next_free_sgpr 13
		.amdhsa_reserve_vcc 1
		.amdhsa_reserve_flat_scratch 0
		.amdhsa_float_round_mode_32 0
		.amdhsa_float_round_mode_16_64 0
		.amdhsa_float_denorm_mode_32 3
		.amdhsa_float_denorm_mode_16_64 3
		.amdhsa_dx10_clamp 1
		.amdhsa_ieee_mode 1
		.amdhsa_fp16_overflow 0
		.amdhsa_exception_fp_ieee_invalid_op 0
		.amdhsa_exception_fp_denorm_src 0
		.amdhsa_exception_fp_ieee_div_zero 0
		.amdhsa_exception_fp_ieee_overflow 0
		.amdhsa_exception_fp_ieee_underflow 0
		.amdhsa_exception_fp_ieee_inexact 0
		.amdhsa_exception_int_div_zero 0
	.end_amdhsa_kernel
	.section	.text._Z6kernelI14exclusive_scanaLj60ELj15ELj100EEvPKT0_PS1_S1_,"axG",@progbits,_Z6kernelI14exclusive_scanaLj60ELj15ELj100EEvPKT0_PS1_S1_,comdat
.Lfunc_end72:
	.size	_Z6kernelI14exclusive_scanaLj60ELj15ELj100EEvPKT0_PS1_S1_, .Lfunc_end72-_Z6kernelI14exclusive_scanaLj60ELj15ELj100EEvPKT0_PS1_S1_
                                        ; -- End function
	.set _Z6kernelI14exclusive_scanaLj60ELj15ELj100EEvPKT0_PS1_S1_.num_vgpr, 8
	.set _Z6kernelI14exclusive_scanaLj60ELj15ELj100EEvPKT0_PS1_S1_.num_agpr, 0
	.set _Z6kernelI14exclusive_scanaLj60ELj15ELj100EEvPKT0_PS1_S1_.numbered_sgpr, 13
	.set _Z6kernelI14exclusive_scanaLj60ELj15ELj100EEvPKT0_PS1_S1_.num_named_barrier, 0
	.set _Z6kernelI14exclusive_scanaLj60ELj15ELj100EEvPKT0_PS1_S1_.private_seg_size, 0
	.set _Z6kernelI14exclusive_scanaLj60ELj15ELj100EEvPKT0_PS1_S1_.uses_vcc, 1
	.set _Z6kernelI14exclusive_scanaLj60ELj15ELj100EEvPKT0_PS1_S1_.uses_flat_scratch, 0
	.set _Z6kernelI14exclusive_scanaLj60ELj15ELj100EEvPKT0_PS1_S1_.has_dyn_sized_stack, 0
	.set _Z6kernelI14exclusive_scanaLj60ELj15ELj100EEvPKT0_PS1_S1_.has_recursion, 0
	.set _Z6kernelI14exclusive_scanaLj60ELj15ELj100EEvPKT0_PS1_S1_.has_indirect_call, 0
	.section	.AMDGPU.csdata,"",@progbits
; Kernel info:
; codeLenInByte = 404
; TotalNumSgprs: 17
; NumVgprs: 8
; ScratchSize: 0
; MemoryBound: 0
; FloatMode: 240
; IeeeMode: 1
; LDSByteSize: 15 bytes/workgroup (compile time only)
; SGPRBlocks: 2
; VGPRBlocks: 1
; NumSGPRsForWavesPerEU: 17
; NumVGPRsForWavesPerEU: 8
; Occupancy: 10
; WaveLimiterHint : 0
; COMPUTE_PGM_RSRC2:SCRATCH_EN: 0
; COMPUTE_PGM_RSRC2:USER_SGPR: 6
; COMPUTE_PGM_RSRC2:TRAP_HANDLER: 0
; COMPUTE_PGM_RSRC2:TGID_X_EN: 1
; COMPUTE_PGM_RSRC2:TGID_Y_EN: 0
; COMPUTE_PGM_RSRC2:TGID_Z_EN: 0
; COMPUTE_PGM_RSRC2:TIDIG_COMP_CNT: 0
	.section	.text._Z6kernelI14exclusive_scanaLj256ELj16ELj100EEvPKT0_PS1_S1_,"axG",@progbits,_Z6kernelI14exclusive_scanaLj256ELj16ELj100EEvPKT0_PS1_S1_,comdat
	.protected	_Z6kernelI14exclusive_scanaLj256ELj16ELj100EEvPKT0_PS1_S1_ ; -- Begin function _Z6kernelI14exclusive_scanaLj256ELj16ELj100EEvPKT0_PS1_S1_
	.globl	_Z6kernelI14exclusive_scanaLj256ELj16ELj100EEvPKT0_PS1_S1_
	.p2align	8
	.type	_Z6kernelI14exclusive_scanaLj256ELj16ELj100EEvPKT0_PS1_S1_,@function
_Z6kernelI14exclusive_scanaLj256ELj16ELj100EEvPKT0_PS1_S1_: ; @_Z6kernelI14exclusive_scanaLj256ELj16ELj100EEvPKT0_PS1_S1_
; %bb.0:
	s_load_dword s0, s[4:5], 0x24
	s_load_dwordx4 s[8:11], s[4:5], 0x0
	s_load_dword s12, s[4:5], 0x10
	v_mbcnt_lo_u32_b32 v2, -1, 0
	v_mbcnt_hi_u32_b32 v2, -1, v2
	s_waitcnt lgkmcnt(0)
	s_and_b32 s0, s0, 0xffff
	s_mul_i32 s6, s6, s0
	v_add_u32_e32 v0, s6, v0
	global_load_ubyte v1, v0, s[8:9]
	v_and_b32_e32 v3, 15, v2
	v_cmp_eq_u32_e32 vcc, 0, v3
	v_cmp_lt_u32_e64 s[0:1], 1, v3
	v_cmp_lt_u32_e64 s[2:3], 3, v3
	;; [unrolled: 1-line block ×3, first 2 shown]
	v_add_u32_e32 v3, -1, v2
	v_and_b32_e32 v4, 0x70, v2
	v_cmp_lt_i32_e64 s[6:7], v3, v4
	v_cndmask_b32_e64 v2, v3, v2, s[6:7]
	v_lshlrev_b32_e32 v2, 2, v2
	s_movk_i32 s6, 0x64
	v_mov_b32_e32 v3, s12
.LBB73_1:                               ; =>This Inner Loop Header: Depth=1
	s_waitcnt vmcnt(0)
	v_and_b32_e32 v4, 0xff, v1
	s_add_i32 s6, s6, -1
	s_cmp_lg_u32 s6, 0
	v_mov_b32_dpp v4, v4 row_shr:1 row_mask:0xf bank_mask:0xf
	v_cndmask_b32_e64 v4, v4, 0, vcc
	v_add_u16_e32 v1, v4, v1
	v_and_b32_e32 v4, 0xff, v1
	s_nop 1
	v_mov_b32_dpp v4, v4 row_shr:2 row_mask:0xf bank_mask:0xf
	v_cndmask_b32_e64 v4, 0, v4, s[0:1]
	v_add_u16_e32 v1, v1, v4
	v_and_b32_e32 v4, 0xff, v1
	s_nop 1
	v_mov_b32_dpp v4, v4 row_shr:4 row_mask:0xf bank_mask:0xf
	v_cndmask_b32_e64 v4, 0, v4, s[2:3]
	;; [unrolled: 5-line block ×3, first 2 shown]
	v_add_u16_e32 v4, s12, v4
	v_add_u16_e32 v1, v4, v1
	v_and_b32_e32 v1, 0xff, v1
	ds_bpermute_b32 v1, v2, v1
	s_waitcnt lgkmcnt(0)
	v_cndmask_b32_e32 v1, v1, v3, vcc
	s_cbranch_scc1 .LBB73_1
; %bb.2:
	v_mov_b32_e32 v3, s11
	v_add_co_u32_e32 v2, vcc, s10, v0
	v_addc_co_u32_e32 v3, vcc, 0, v3, vcc
	global_store_byte v[2:3], v1, off
	s_endpgm
	.section	.rodata,"a",@progbits
	.p2align	6, 0x0
	.amdhsa_kernel _Z6kernelI14exclusive_scanaLj256ELj16ELj100EEvPKT0_PS1_S1_
		.amdhsa_group_segment_fixed_size 0
		.amdhsa_private_segment_fixed_size 0
		.amdhsa_kernarg_size 280
		.amdhsa_user_sgpr_count 6
		.amdhsa_user_sgpr_private_segment_buffer 1
		.amdhsa_user_sgpr_dispatch_ptr 0
		.amdhsa_user_sgpr_queue_ptr 0
		.amdhsa_user_sgpr_kernarg_segment_ptr 1
		.amdhsa_user_sgpr_dispatch_id 0
		.amdhsa_user_sgpr_flat_scratch_init 0
		.amdhsa_user_sgpr_private_segment_size 0
		.amdhsa_uses_dynamic_stack 0
		.amdhsa_system_sgpr_private_segment_wavefront_offset 0
		.amdhsa_system_sgpr_workgroup_id_x 1
		.amdhsa_system_sgpr_workgroup_id_y 0
		.amdhsa_system_sgpr_workgroup_id_z 0
		.amdhsa_system_sgpr_workgroup_info 0
		.amdhsa_system_vgpr_workitem_id 0
		.amdhsa_next_free_vgpr 5
		.amdhsa_next_free_sgpr 13
		.amdhsa_reserve_vcc 1
		.amdhsa_reserve_flat_scratch 0
		.amdhsa_float_round_mode_32 0
		.amdhsa_float_round_mode_16_64 0
		.amdhsa_float_denorm_mode_32 3
		.amdhsa_float_denorm_mode_16_64 3
		.amdhsa_dx10_clamp 1
		.amdhsa_ieee_mode 1
		.amdhsa_fp16_overflow 0
		.amdhsa_exception_fp_ieee_invalid_op 0
		.amdhsa_exception_fp_denorm_src 0
		.amdhsa_exception_fp_ieee_div_zero 0
		.amdhsa_exception_fp_ieee_overflow 0
		.amdhsa_exception_fp_ieee_underflow 0
		.amdhsa_exception_fp_ieee_inexact 0
		.amdhsa_exception_int_div_zero 0
	.end_amdhsa_kernel
	.section	.text._Z6kernelI14exclusive_scanaLj256ELj16ELj100EEvPKT0_PS1_S1_,"axG",@progbits,_Z6kernelI14exclusive_scanaLj256ELj16ELj100EEvPKT0_PS1_S1_,comdat
.Lfunc_end73:
	.size	_Z6kernelI14exclusive_scanaLj256ELj16ELj100EEvPKT0_PS1_S1_, .Lfunc_end73-_Z6kernelI14exclusive_scanaLj256ELj16ELj100EEvPKT0_PS1_S1_
                                        ; -- End function
	.set _Z6kernelI14exclusive_scanaLj256ELj16ELj100EEvPKT0_PS1_S1_.num_vgpr, 5
	.set _Z6kernelI14exclusive_scanaLj256ELj16ELj100EEvPKT0_PS1_S1_.num_agpr, 0
	.set _Z6kernelI14exclusive_scanaLj256ELj16ELj100EEvPKT0_PS1_S1_.numbered_sgpr, 13
	.set _Z6kernelI14exclusive_scanaLj256ELj16ELj100EEvPKT0_PS1_S1_.num_named_barrier, 0
	.set _Z6kernelI14exclusive_scanaLj256ELj16ELj100EEvPKT0_PS1_S1_.private_seg_size, 0
	.set _Z6kernelI14exclusive_scanaLj256ELj16ELj100EEvPKT0_PS1_S1_.uses_vcc, 1
	.set _Z6kernelI14exclusive_scanaLj256ELj16ELj100EEvPKT0_PS1_S1_.uses_flat_scratch, 0
	.set _Z6kernelI14exclusive_scanaLj256ELj16ELj100EEvPKT0_PS1_S1_.has_dyn_sized_stack, 0
	.set _Z6kernelI14exclusive_scanaLj256ELj16ELj100EEvPKT0_PS1_S1_.has_recursion, 0
	.set _Z6kernelI14exclusive_scanaLj256ELj16ELj100EEvPKT0_PS1_S1_.has_indirect_call, 0
	.section	.AMDGPU.csdata,"",@progbits
; Kernel info:
; codeLenInByte = 332
; TotalNumSgprs: 17
; NumVgprs: 5
; ScratchSize: 0
; MemoryBound: 0
; FloatMode: 240
; IeeeMode: 1
; LDSByteSize: 0 bytes/workgroup (compile time only)
; SGPRBlocks: 2
; VGPRBlocks: 1
; NumSGPRsForWavesPerEU: 17
; NumVGPRsForWavesPerEU: 5
; Occupancy: 10
; WaveLimiterHint : 0
; COMPUTE_PGM_RSRC2:SCRATCH_EN: 0
; COMPUTE_PGM_RSRC2:USER_SGPR: 6
; COMPUTE_PGM_RSRC2:TRAP_HANDLER: 0
; COMPUTE_PGM_RSRC2:TGID_X_EN: 1
; COMPUTE_PGM_RSRC2:TGID_Y_EN: 0
; COMPUTE_PGM_RSRC2:TGID_Z_EN: 0
; COMPUTE_PGM_RSRC2:TIDIG_COMP_CNT: 0
	.section	.text._Z6kernelI14exclusive_scanaLj62ELj31ELj100EEvPKT0_PS1_S1_,"axG",@progbits,_Z6kernelI14exclusive_scanaLj62ELj31ELj100EEvPKT0_PS1_S1_,comdat
	.protected	_Z6kernelI14exclusive_scanaLj62ELj31ELj100EEvPKT0_PS1_S1_ ; -- Begin function _Z6kernelI14exclusive_scanaLj62ELj31ELj100EEvPKT0_PS1_S1_
	.globl	_Z6kernelI14exclusive_scanaLj62ELj31ELj100EEvPKT0_PS1_S1_
	.p2align	8
	.type	_Z6kernelI14exclusive_scanaLj62ELj31ELj100EEvPKT0_PS1_S1_,@function
_Z6kernelI14exclusive_scanaLj62ELj31ELj100EEvPKT0_PS1_S1_: ; @_Z6kernelI14exclusive_scanaLj62ELj31ELj100EEvPKT0_PS1_S1_
; %bb.0:
	s_load_dword s0, s[4:5], 0x24
	s_load_dwordx4 s[8:11], s[4:5], 0x0
	s_load_dword s12, s[4:5], 0x10
	v_mbcnt_lo_u32_b32 v2, -1, 0
	v_mbcnt_hi_u32_b32 v2, -1, v2
	s_waitcnt lgkmcnt(0)
	s_and_b32 s0, s0, 0xffff
	s_mul_i32 s6, s6, s0
	v_add_u32_e32 v0, s6, v0
	global_load_ubyte v1, v0, s[8:9]
	s_mov_b32 s0, 0x8421085
	v_mul_hi_u32 v3, v2, s0
	s_movk_i32 s13, 0x64
	v_mul_u32_u24_e32 v3, 31, v3
	v_sub_u32_e32 v2, v2, v3
	v_cmp_ne_u32_e32 vcc, 0, v2
	v_cmp_lt_u32_e64 s[0:1], 1, v2
	v_cmp_lt_u32_e64 s[2:3], 3, v2
	;; [unrolled: 1-line block ×4, first 2 shown]
	v_add_u32_e32 v3, -1, v2
	v_add_u32_e32 v4, -2, v2
	;; [unrolled: 1-line block ×5, first 2 shown]
	s_branch .LBB74_2
.LBB74_1:                               ;   in Loop: Header=BB74_2 Depth=1
	s_or_b64 exec, exec, s[8:9]
	s_add_i32 s13, s13, -1
	s_cmp_lg_u32 s13, 0
	s_cbranch_scc0 .LBB74_24
.LBB74_2:                               ; =>This Inner Loop Header: Depth=1
	s_waitcnt vmcnt(0)
	ds_write_b8 v2, v1
	; wave barrier
	s_and_saveexec_b64 s[8:9], vcc
	s_cbranch_execz .LBB74_4
; %bb.3:                                ;   in Loop: Header=BB74_2 Depth=1
	ds_read_u8 v8, v3
	s_waitcnt lgkmcnt(0)
	v_add_u16_e32 v1, v8, v1
.LBB74_4:                               ;   in Loop: Header=BB74_2 Depth=1
	s_or_b64 exec, exec, s[8:9]
	; wave barrier
	s_and_saveexec_b64 s[8:9], vcc
; %bb.5:                                ;   in Loop: Header=BB74_2 Depth=1
	ds_write_b8 v2, v1
; %bb.6:                                ;   in Loop: Header=BB74_2 Depth=1
	s_or_b64 exec, exec, s[8:9]
	; wave barrier
	s_and_saveexec_b64 s[8:9], s[0:1]
	s_cbranch_execz .LBB74_8
; %bb.7:                                ;   in Loop: Header=BB74_2 Depth=1
	ds_read_u8 v8, v4
	s_waitcnt lgkmcnt(0)
	v_add_u16_e32 v1, v8, v1
.LBB74_8:                               ;   in Loop: Header=BB74_2 Depth=1
	s_or_b64 exec, exec, s[8:9]
	; wave barrier
	s_and_saveexec_b64 s[8:9], s[0:1]
; %bb.9:                                ;   in Loop: Header=BB74_2 Depth=1
	ds_write_b8 v2, v1
; %bb.10:                               ;   in Loop: Header=BB74_2 Depth=1
	s_or_b64 exec, exec, s[8:9]
	; wave barrier
	s_and_saveexec_b64 s[8:9], s[2:3]
	s_cbranch_execz .LBB74_12
; %bb.11:                               ;   in Loop: Header=BB74_2 Depth=1
	ds_read_u8 v8, v5
	s_waitcnt lgkmcnt(0)
	v_add_u16_e32 v1, v8, v1
.LBB74_12:                              ;   in Loop: Header=BB74_2 Depth=1
	s_or_b64 exec, exec, s[8:9]
	; wave barrier
	s_and_saveexec_b64 s[8:9], s[2:3]
; %bb.13:                               ;   in Loop: Header=BB74_2 Depth=1
	ds_write_b8 v2, v1
; %bb.14:                               ;   in Loop: Header=BB74_2 Depth=1
	s_or_b64 exec, exec, s[8:9]
	; wave barrier
	s_and_saveexec_b64 s[8:9], s[4:5]
	s_cbranch_execz .LBB74_16
; %bb.15:                               ;   in Loop: Header=BB74_2 Depth=1
	ds_read_u8 v8, v6
	s_waitcnt lgkmcnt(0)
	v_add_u16_e32 v1, v8, v1
.LBB74_16:                              ;   in Loop: Header=BB74_2 Depth=1
	s_or_b64 exec, exec, s[8:9]
	; wave barrier
	s_and_saveexec_b64 s[8:9], s[4:5]
; %bb.17:                               ;   in Loop: Header=BB74_2 Depth=1
	;; [unrolled: 15-line block ×3, first 2 shown]
	ds_write_b8 v2, v1
; %bb.22:                               ;   in Loop: Header=BB74_2 Depth=1
	s_or_b64 exec, exec, s[8:9]
	v_mov_b32_e32 v1, s12
	; wave barrier
	s_and_saveexec_b64 s[8:9], vcc
	s_cbranch_execz .LBB74_1
; %bb.23:                               ;   in Loop: Header=BB74_2 Depth=1
	ds_read_u8 v1, v3
	s_waitcnt lgkmcnt(0)
	v_add_u16_e32 v1, s12, v1
	s_branch .LBB74_1
.LBB74_24:
	v_mov_b32_e32 v3, s11
	v_add_co_u32_e32 v2, vcc, s10, v0
	v_addc_co_u32_e32 v3, vcc, 0, v3, vcc
	global_store_byte v[2:3], v1, off
	s_endpgm
	.section	.rodata,"a",@progbits
	.p2align	6, 0x0
	.amdhsa_kernel _Z6kernelI14exclusive_scanaLj62ELj31ELj100EEvPKT0_PS1_S1_
		.amdhsa_group_segment_fixed_size 31
		.amdhsa_private_segment_fixed_size 0
		.amdhsa_kernarg_size 280
		.amdhsa_user_sgpr_count 6
		.amdhsa_user_sgpr_private_segment_buffer 1
		.amdhsa_user_sgpr_dispatch_ptr 0
		.amdhsa_user_sgpr_queue_ptr 0
		.amdhsa_user_sgpr_kernarg_segment_ptr 1
		.amdhsa_user_sgpr_dispatch_id 0
		.amdhsa_user_sgpr_flat_scratch_init 0
		.amdhsa_user_sgpr_private_segment_size 0
		.amdhsa_uses_dynamic_stack 0
		.amdhsa_system_sgpr_private_segment_wavefront_offset 0
		.amdhsa_system_sgpr_workgroup_id_x 1
		.amdhsa_system_sgpr_workgroup_id_y 0
		.amdhsa_system_sgpr_workgroup_id_z 0
		.amdhsa_system_sgpr_workgroup_info 0
		.amdhsa_system_vgpr_workitem_id 0
		.amdhsa_next_free_vgpr 9
		.amdhsa_next_free_sgpr 14
		.amdhsa_reserve_vcc 1
		.amdhsa_reserve_flat_scratch 0
		.amdhsa_float_round_mode_32 0
		.amdhsa_float_round_mode_16_64 0
		.amdhsa_float_denorm_mode_32 3
		.amdhsa_float_denorm_mode_16_64 3
		.amdhsa_dx10_clamp 1
		.amdhsa_ieee_mode 1
		.amdhsa_fp16_overflow 0
		.amdhsa_exception_fp_ieee_invalid_op 0
		.amdhsa_exception_fp_denorm_src 0
		.amdhsa_exception_fp_ieee_div_zero 0
		.amdhsa_exception_fp_ieee_overflow 0
		.amdhsa_exception_fp_ieee_underflow 0
		.amdhsa_exception_fp_ieee_inexact 0
		.amdhsa_exception_int_div_zero 0
	.end_amdhsa_kernel
	.section	.text._Z6kernelI14exclusive_scanaLj62ELj31ELj100EEvPKT0_PS1_S1_,"axG",@progbits,_Z6kernelI14exclusive_scanaLj62ELj31ELj100EEvPKT0_PS1_S1_,comdat
.Lfunc_end74:
	.size	_Z6kernelI14exclusive_scanaLj62ELj31ELj100EEvPKT0_PS1_S1_, .Lfunc_end74-_Z6kernelI14exclusive_scanaLj62ELj31ELj100EEvPKT0_PS1_S1_
                                        ; -- End function
	.set _Z6kernelI14exclusive_scanaLj62ELj31ELj100EEvPKT0_PS1_S1_.num_vgpr, 9
	.set _Z6kernelI14exclusive_scanaLj62ELj31ELj100EEvPKT0_PS1_S1_.num_agpr, 0
	.set _Z6kernelI14exclusive_scanaLj62ELj31ELj100EEvPKT0_PS1_S1_.numbered_sgpr, 14
	.set _Z6kernelI14exclusive_scanaLj62ELj31ELj100EEvPKT0_PS1_S1_.num_named_barrier, 0
	.set _Z6kernelI14exclusive_scanaLj62ELj31ELj100EEvPKT0_PS1_S1_.private_seg_size, 0
	.set _Z6kernelI14exclusive_scanaLj62ELj31ELj100EEvPKT0_PS1_S1_.uses_vcc, 1
	.set _Z6kernelI14exclusive_scanaLj62ELj31ELj100EEvPKT0_PS1_S1_.uses_flat_scratch, 0
	.set _Z6kernelI14exclusive_scanaLj62ELj31ELj100EEvPKT0_PS1_S1_.has_dyn_sized_stack, 0
	.set _Z6kernelI14exclusive_scanaLj62ELj31ELj100EEvPKT0_PS1_S1_.has_recursion, 0
	.set _Z6kernelI14exclusive_scanaLj62ELj31ELj100EEvPKT0_PS1_S1_.has_indirect_call, 0
	.section	.AMDGPU.csdata,"",@progbits
; Kernel info:
; codeLenInByte = 460
; TotalNumSgprs: 18
; NumVgprs: 9
; ScratchSize: 0
; MemoryBound: 0
; FloatMode: 240
; IeeeMode: 1
; LDSByteSize: 31 bytes/workgroup (compile time only)
; SGPRBlocks: 2
; VGPRBlocks: 2
; NumSGPRsForWavesPerEU: 18
; NumVGPRsForWavesPerEU: 9
; Occupancy: 10
; WaveLimiterHint : 0
; COMPUTE_PGM_RSRC2:SCRATCH_EN: 0
; COMPUTE_PGM_RSRC2:USER_SGPR: 6
; COMPUTE_PGM_RSRC2:TRAP_HANDLER: 0
; COMPUTE_PGM_RSRC2:TGID_X_EN: 1
; COMPUTE_PGM_RSRC2:TGID_Y_EN: 0
; COMPUTE_PGM_RSRC2:TGID_Z_EN: 0
; COMPUTE_PGM_RSRC2:TIDIG_COMP_CNT: 0
	.section	.text._Z6kernelI14exclusive_scanaLj256ELj32ELj100EEvPKT0_PS1_S1_,"axG",@progbits,_Z6kernelI14exclusive_scanaLj256ELj32ELj100EEvPKT0_PS1_S1_,comdat
	.protected	_Z6kernelI14exclusive_scanaLj256ELj32ELj100EEvPKT0_PS1_S1_ ; -- Begin function _Z6kernelI14exclusive_scanaLj256ELj32ELj100EEvPKT0_PS1_S1_
	.globl	_Z6kernelI14exclusive_scanaLj256ELj32ELj100EEvPKT0_PS1_S1_
	.p2align	8
	.type	_Z6kernelI14exclusive_scanaLj256ELj32ELj100EEvPKT0_PS1_S1_,@function
_Z6kernelI14exclusive_scanaLj256ELj32ELj100EEvPKT0_PS1_S1_: ; @_Z6kernelI14exclusive_scanaLj256ELj32ELj100EEvPKT0_PS1_S1_
; %bb.0:
	s_load_dword s0, s[4:5], 0x24
	s_load_dwordx4 s[8:11], s[4:5], 0x0
	s_load_dword s12, s[4:5], 0x10
	v_mbcnt_lo_u32_b32 v1, -1, 0
	v_mbcnt_hi_u32_b32 v3, -1, v1
	s_waitcnt lgkmcnt(0)
	s_and_b32 s0, s0, 0xffff
	s_mul_i32 s6, s6, s0
	v_add_u32_e32 v0, s6, v0
	global_load_ubyte v2, v0, s[8:9]
	v_and_b32_e32 v1, 15, v3
	v_cmp_eq_u32_e32 vcc, 0, v1
	v_cmp_lt_u32_e64 s[0:1], 1, v1
	v_cmp_lt_u32_e64 s[2:3], 3, v1
	;; [unrolled: 1-line block ×3, first 2 shown]
	v_and_b32_e32 v1, 16, v3
	v_cmp_eq_u32_e64 s[6:7], 0, v1
	v_add_u32_e32 v1, -1, v3
	v_and_b32_e32 v4, 0x60, v3
	v_cmp_lt_i32_e64 s[8:9], v1, v4
	v_cndmask_b32_e64 v1, v1, v3, s[8:9]
	v_and_b32_e32 v3, 31, v3
	v_lshlrev_b32_e32 v1, 2, v1
	v_cmp_eq_u32_e64 s[8:9], 0, v3
	s_movk_i32 s13, 0x64
	v_mov_b32_e32 v3, s12
.LBB75_1:                               ; =>This Inner Loop Header: Depth=1
	s_waitcnt vmcnt(0)
	v_and_b32_e32 v4, 0xff, v2
	s_add_i32 s13, s13, -1
	s_cmp_lg_u32 s13, 0
	v_mov_b32_dpp v4, v4 row_shr:1 row_mask:0xf bank_mask:0xf
	v_cndmask_b32_e64 v4, v4, 0, vcc
	v_add_u16_e32 v2, v4, v2
	v_and_b32_e32 v4, 0xff, v2
	s_nop 1
	v_mov_b32_dpp v4, v4 row_shr:2 row_mask:0xf bank_mask:0xf
	v_cndmask_b32_e64 v4, 0, v4, s[0:1]
	v_add_u16_e32 v2, v2, v4
	v_and_b32_e32 v4, 0xff, v2
	s_nop 1
	v_mov_b32_dpp v4, v4 row_shr:4 row_mask:0xf bank_mask:0xf
	v_cndmask_b32_e64 v4, 0, v4, s[2:3]
	;; [unrolled: 5-line block ×3, first 2 shown]
	v_add_u16_e32 v2, v2, v4
	v_and_b32_e32 v4, 0xff, v2
	s_nop 1
	v_mov_b32_dpp v4, v4 row_bcast:15 row_mask:0xf bank_mask:0xf
	v_cndmask_b32_e64 v4, v4, 0, s[6:7]
	v_add_u16_e32 v4, s12, v4
	v_add_u16_e32 v2, v4, v2
	v_and_b32_e32 v2, 0xff, v2
	ds_bpermute_b32 v2, v1, v2
	s_waitcnt lgkmcnt(0)
	v_cndmask_b32_e64 v2, v2, v3, s[8:9]
	s_cbranch_scc1 .LBB75_1
; %bb.2:
	v_mov_b32_e32 v1, s11
	v_add_co_u32_e32 v0, vcc, s10, v0
	v_addc_co_u32_e32 v1, vcc, 0, v1, vcc
	global_store_byte v[0:1], v2, off
	s_endpgm
	.section	.rodata,"a",@progbits
	.p2align	6, 0x0
	.amdhsa_kernel _Z6kernelI14exclusive_scanaLj256ELj32ELj100EEvPKT0_PS1_S1_
		.amdhsa_group_segment_fixed_size 0
		.amdhsa_private_segment_fixed_size 0
		.amdhsa_kernarg_size 280
		.amdhsa_user_sgpr_count 6
		.amdhsa_user_sgpr_private_segment_buffer 1
		.amdhsa_user_sgpr_dispatch_ptr 0
		.amdhsa_user_sgpr_queue_ptr 0
		.amdhsa_user_sgpr_kernarg_segment_ptr 1
		.amdhsa_user_sgpr_dispatch_id 0
		.amdhsa_user_sgpr_flat_scratch_init 0
		.amdhsa_user_sgpr_private_segment_size 0
		.amdhsa_uses_dynamic_stack 0
		.amdhsa_system_sgpr_private_segment_wavefront_offset 0
		.amdhsa_system_sgpr_workgroup_id_x 1
		.amdhsa_system_sgpr_workgroup_id_y 0
		.amdhsa_system_sgpr_workgroup_id_z 0
		.amdhsa_system_sgpr_workgroup_info 0
		.amdhsa_system_vgpr_workitem_id 0
		.amdhsa_next_free_vgpr 5
		.amdhsa_next_free_sgpr 14
		.amdhsa_reserve_vcc 1
		.amdhsa_reserve_flat_scratch 0
		.amdhsa_float_round_mode_32 0
		.amdhsa_float_round_mode_16_64 0
		.amdhsa_float_denorm_mode_32 3
		.amdhsa_float_denorm_mode_16_64 3
		.amdhsa_dx10_clamp 1
		.amdhsa_ieee_mode 1
		.amdhsa_fp16_overflow 0
		.amdhsa_exception_fp_ieee_invalid_op 0
		.amdhsa_exception_fp_denorm_src 0
		.amdhsa_exception_fp_ieee_div_zero 0
		.amdhsa_exception_fp_ieee_overflow 0
		.amdhsa_exception_fp_ieee_underflow 0
		.amdhsa_exception_fp_ieee_inexact 0
		.amdhsa_exception_int_div_zero 0
	.end_amdhsa_kernel
	.section	.text._Z6kernelI14exclusive_scanaLj256ELj32ELj100EEvPKT0_PS1_S1_,"axG",@progbits,_Z6kernelI14exclusive_scanaLj256ELj32ELj100EEvPKT0_PS1_S1_,comdat
.Lfunc_end75:
	.size	_Z6kernelI14exclusive_scanaLj256ELj32ELj100EEvPKT0_PS1_S1_, .Lfunc_end75-_Z6kernelI14exclusive_scanaLj256ELj32ELj100EEvPKT0_PS1_S1_
                                        ; -- End function
	.set _Z6kernelI14exclusive_scanaLj256ELj32ELj100EEvPKT0_PS1_S1_.num_vgpr, 5
	.set _Z6kernelI14exclusive_scanaLj256ELj32ELj100EEvPKT0_PS1_S1_.num_agpr, 0
	.set _Z6kernelI14exclusive_scanaLj256ELj32ELj100EEvPKT0_PS1_S1_.numbered_sgpr, 14
	.set _Z6kernelI14exclusive_scanaLj256ELj32ELj100EEvPKT0_PS1_S1_.num_named_barrier, 0
	.set _Z6kernelI14exclusive_scanaLj256ELj32ELj100EEvPKT0_PS1_S1_.private_seg_size, 0
	.set _Z6kernelI14exclusive_scanaLj256ELj32ELj100EEvPKT0_PS1_S1_.uses_vcc, 1
	.set _Z6kernelI14exclusive_scanaLj256ELj32ELj100EEvPKT0_PS1_S1_.uses_flat_scratch, 0
	.set _Z6kernelI14exclusive_scanaLj256ELj32ELj100EEvPKT0_PS1_S1_.has_dyn_sized_stack, 0
	.set _Z6kernelI14exclusive_scanaLj256ELj32ELj100EEvPKT0_PS1_S1_.has_recursion, 0
	.set _Z6kernelI14exclusive_scanaLj256ELj32ELj100EEvPKT0_PS1_S1_.has_indirect_call, 0
	.section	.AMDGPU.csdata,"",@progbits
; Kernel info:
; codeLenInByte = 392
; TotalNumSgprs: 18
; NumVgprs: 5
; ScratchSize: 0
; MemoryBound: 0
; FloatMode: 240
; IeeeMode: 1
; LDSByteSize: 0 bytes/workgroup (compile time only)
; SGPRBlocks: 2
; VGPRBlocks: 1
; NumSGPRsForWavesPerEU: 18
; NumVGPRsForWavesPerEU: 5
; Occupancy: 10
; WaveLimiterHint : 0
; COMPUTE_PGM_RSRC2:SCRATCH_EN: 0
; COMPUTE_PGM_RSRC2:USER_SGPR: 6
; COMPUTE_PGM_RSRC2:TRAP_HANDLER: 0
; COMPUTE_PGM_RSRC2:TGID_X_EN: 1
; COMPUTE_PGM_RSRC2:TGID_Y_EN: 0
; COMPUTE_PGM_RSRC2:TGID_Z_EN: 0
; COMPUTE_PGM_RSRC2:TIDIG_COMP_CNT: 0
	.section	.text._Z6kernelI14exclusive_scanaLj63ELj63ELj100EEvPKT0_PS1_S1_,"axG",@progbits,_Z6kernelI14exclusive_scanaLj63ELj63ELj100EEvPKT0_PS1_S1_,comdat
	.protected	_Z6kernelI14exclusive_scanaLj63ELj63ELj100EEvPKT0_PS1_S1_ ; -- Begin function _Z6kernelI14exclusive_scanaLj63ELj63ELj100EEvPKT0_PS1_S1_
	.globl	_Z6kernelI14exclusive_scanaLj63ELj63ELj100EEvPKT0_PS1_S1_
	.p2align	8
	.type	_Z6kernelI14exclusive_scanaLj63ELj63ELj100EEvPKT0_PS1_S1_,@function
_Z6kernelI14exclusive_scanaLj63ELj63ELj100EEvPKT0_PS1_S1_: ; @_Z6kernelI14exclusive_scanaLj63ELj63ELj100EEvPKT0_PS1_S1_
; %bb.0:
	s_load_dword s0, s[4:5], 0x24
	s_load_dwordx4 s[8:11], s[4:5], 0x0
	s_load_dword s14, s[4:5], 0x10
	v_mbcnt_lo_u32_b32 v2, -1, 0
	v_mbcnt_hi_u32_b32 v2, -1, v2
	s_waitcnt lgkmcnt(0)
	s_and_b32 s0, s0, 0xffff
	s_mul_i32 s6, s6, s0
	v_add_u32_e32 v0, s6, v0
	global_load_ubyte v1, v0, s[8:9]
	s_mov_b32 s0, 0x4104105
	v_mul_hi_u32 v3, v2, s0
	s_movk_i32 s15, 0x64
	v_mul_u32_u24_e32 v3, 63, v3
	v_sub_u32_e32 v2, v2, v3
	v_cmp_ne_u32_e32 vcc, 0, v2
	v_cmp_lt_u32_e64 s[0:1], 1, v2
	v_cmp_lt_u32_e64 s[2:3], 3, v2
	;; [unrolled: 1-line block ×5, first 2 shown]
	v_add_u32_e32 v3, -1, v2
	v_add_u32_e32 v4, -2, v2
	;; [unrolled: 1-line block ×5, first 2 shown]
	v_subrev_u32_e32 v8, 32, v2
	s_branch .LBB76_2
.LBB76_1:                               ;   in Loop: Header=BB76_2 Depth=1
	s_or_b64 exec, exec, s[12:13]
	s_add_i32 s15, s15, -1
	s_cmp_lg_u32 s15, 0
	s_cbranch_scc0 .LBB76_28
.LBB76_2:                               ; =>This Inner Loop Header: Depth=1
	s_waitcnt vmcnt(0)
	ds_write_b8 v2, v1
	; wave barrier
	s_and_saveexec_b64 s[12:13], vcc
	s_cbranch_execz .LBB76_4
; %bb.3:                                ;   in Loop: Header=BB76_2 Depth=1
	ds_read_u8 v9, v3
	s_waitcnt lgkmcnt(0)
	v_add_u16_e32 v1, v9, v1
.LBB76_4:                               ;   in Loop: Header=BB76_2 Depth=1
	s_or_b64 exec, exec, s[12:13]
	; wave barrier
	s_and_saveexec_b64 s[12:13], vcc
; %bb.5:                                ;   in Loop: Header=BB76_2 Depth=1
	ds_write_b8 v2, v1
; %bb.6:                                ;   in Loop: Header=BB76_2 Depth=1
	s_or_b64 exec, exec, s[12:13]
	; wave barrier
	s_and_saveexec_b64 s[12:13], s[0:1]
	s_cbranch_execz .LBB76_8
; %bb.7:                                ;   in Loop: Header=BB76_2 Depth=1
	ds_read_u8 v9, v4
	s_waitcnt lgkmcnt(0)
	v_add_u16_e32 v1, v9, v1
.LBB76_8:                               ;   in Loop: Header=BB76_2 Depth=1
	s_or_b64 exec, exec, s[12:13]
	; wave barrier
	s_and_saveexec_b64 s[12:13], s[0:1]
; %bb.9:                                ;   in Loop: Header=BB76_2 Depth=1
	ds_write_b8 v2, v1
; %bb.10:                               ;   in Loop: Header=BB76_2 Depth=1
	s_or_b64 exec, exec, s[12:13]
	; wave barrier
	s_and_saveexec_b64 s[12:13], s[2:3]
	s_cbranch_execz .LBB76_12
; %bb.11:                               ;   in Loop: Header=BB76_2 Depth=1
	ds_read_u8 v9, v5
	s_waitcnt lgkmcnt(0)
	v_add_u16_e32 v1, v9, v1
.LBB76_12:                              ;   in Loop: Header=BB76_2 Depth=1
	s_or_b64 exec, exec, s[12:13]
	; wave barrier
	s_and_saveexec_b64 s[12:13], s[2:3]
; %bb.13:                               ;   in Loop: Header=BB76_2 Depth=1
	ds_write_b8 v2, v1
; %bb.14:                               ;   in Loop: Header=BB76_2 Depth=1
	s_or_b64 exec, exec, s[12:13]
	; wave barrier
	s_and_saveexec_b64 s[12:13], s[4:5]
	s_cbranch_execz .LBB76_16
; %bb.15:                               ;   in Loop: Header=BB76_2 Depth=1
	ds_read_u8 v9, v6
	s_waitcnt lgkmcnt(0)
	v_add_u16_e32 v1, v9, v1
.LBB76_16:                              ;   in Loop: Header=BB76_2 Depth=1
	s_or_b64 exec, exec, s[12:13]
	; wave barrier
	s_and_saveexec_b64 s[12:13], s[4:5]
; %bb.17:                               ;   in Loop: Header=BB76_2 Depth=1
	;; [unrolled: 15-line block ×4, first 2 shown]
	ds_write_b8 v2, v1
; %bb.26:                               ;   in Loop: Header=BB76_2 Depth=1
	s_or_b64 exec, exec, s[12:13]
	v_mov_b32_e32 v1, s14
	; wave barrier
	s_and_saveexec_b64 s[12:13], vcc
	s_cbranch_execz .LBB76_1
; %bb.27:                               ;   in Loop: Header=BB76_2 Depth=1
	ds_read_u8 v1, v3
	s_waitcnt lgkmcnt(0)
	v_add_u16_e32 v1, s14, v1
	s_branch .LBB76_1
.LBB76_28:
	v_mov_b32_e32 v3, s11
	v_add_co_u32_e32 v2, vcc, s10, v0
	v_addc_co_u32_e32 v3, vcc, 0, v3, vcc
	global_store_byte v[2:3], v1, off
	s_endpgm
	.section	.rodata,"a",@progbits
	.p2align	6, 0x0
	.amdhsa_kernel _Z6kernelI14exclusive_scanaLj63ELj63ELj100EEvPKT0_PS1_S1_
		.amdhsa_group_segment_fixed_size 63
		.amdhsa_private_segment_fixed_size 0
		.amdhsa_kernarg_size 280
		.amdhsa_user_sgpr_count 6
		.amdhsa_user_sgpr_private_segment_buffer 1
		.amdhsa_user_sgpr_dispatch_ptr 0
		.amdhsa_user_sgpr_queue_ptr 0
		.amdhsa_user_sgpr_kernarg_segment_ptr 1
		.amdhsa_user_sgpr_dispatch_id 0
		.amdhsa_user_sgpr_flat_scratch_init 0
		.amdhsa_user_sgpr_private_segment_size 0
		.amdhsa_uses_dynamic_stack 0
		.amdhsa_system_sgpr_private_segment_wavefront_offset 0
		.amdhsa_system_sgpr_workgroup_id_x 1
		.amdhsa_system_sgpr_workgroup_id_y 0
		.amdhsa_system_sgpr_workgroup_id_z 0
		.amdhsa_system_sgpr_workgroup_info 0
		.amdhsa_system_vgpr_workitem_id 0
		.amdhsa_next_free_vgpr 10
		.amdhsa_next_free_sgpr 16
		.amdhsa_reserve_vcc 1
		.amdhsa_reserve_flat_scratch 0
		.amdhsa_float_round_mode_32 0
		.amdhsa_float_round_mode_16_64 0
		.amdhsa_float_denorm_mode_32 3
		.amdhsa_float_denorm_mode_16_64 3
		.amdhsa_dx10_clamp 1
		.amdhsa_ieee_mode 1
		.amdhsa_fp16_overflow 0
		.amdhsa_exception_fp_ieee_invalid_op 0
		.amdhsa_exception_fp_denorm_src 0
		.amdhsa_exception_fp_ieee_div_zero 0
		.amdhsa_exception_fp_ieee_overflow 0
		.amdhsa_exception_fp_ieee_underflow 0
		.amdhsa_exception_fp_ieee_inexact 0
		.amdhsa_exception_int_div_zero 0
	.end_amdhsa_kernel
	.section	.text._Z6kernelI14exclusive_scanaLj63ELj63ELj100EEvPKT0_PS1_S1_,"axG",@progbits,_Z6kernelI14exclusive_scanaLj63ELj63ELj100EEvPKT0_PS1_S1_,comdat
.Lfunc_end76:
	.size	_Z6kernelI14exclusive_scanaLj63ELj63ELj100EEvPKT0_PS1_S1_, .Lfunc_end76-_Z6kernelI14exclusive_scanaLj63ELj63ELj100EEvPKT0_PS1_S1_
                                        ; -- End function
	.set _Z6kernelI14exclusive_scanaLj63ELj63ELj100EEvPKT0_PS1_S1_.num_vgpr, 10
	.set _Z6kernelI14exclusive_scanaLj63ELj63ELj100EEvPKT0_PS1_S1_.num_agpr, 0
	.set _Z6kernelI14exclusive_scanaLj63ELj63ELj100EEvPKT0_PS1_S1_.numbered_sgpr, 16
	.set _Z6kernelI14exclusive_scanaLj63ELj63ELj100EEvPKT0_PS1_S1_.num_named_barrier, 0
	.set _Z6kernelI14exclusive_scanaLj63ELj63ELj100EEvPKT0_PS1_S1_.private_seg_size, 0
	.set _Z6kernelI14exclusive_scanaLj63ELj63ELj100EEvPKT0_PS1_S1_.uses_vcc, 1
	.set _Z6kernelI14exclusive_scanaLj63ELj63ELj100EEvPKT0_PS1_S1_.uses_flat_scratch, 0
	.set _Z6kernelI14exclusive_scanaLj63ELj63ELj100EEvPKT0_PS1_S1_.has_dyn_sized_stack, 0
	.set _Z6kernelI14exclusive_scanaLj63ELj63ELj100EEvPKT0_PS1_S1_.has_recursion, 0
	.set _Z6kernelI14exclusive_scanaLj63ELj63ELj100EEvPKT0_PS1_S1_.has_indirect_call, 0
	.section	.AMDGPU.csdata,"",@progbits
; Kernel info:
; codeLenInByte = 516
; TotalNumSgprs: 20
; NumVgprs: 10
; ScratchSize: 0
; MemoryBound: 0
; FloatMode: 240
; IeeeMode: 1
; LDSByteSize: 63 bytes/workgroup (compile time only)
; SGPRBlocks: 2
; VGPRBlocks: 2
; NumSGPRsForWavesPerEU: 20
; NumVGPRsForWavesPerEU: 10
; Occupancy: 10
; WaveLimiterHint : 0
; COMPUTE_PGM_RSRC2:SCRATCH_EN: 0
; COMPUTE_PGM_RSRC2:USER_SGPR: 6
; COMPUTE_PGM_RSRC2:TRAP_HANDLER: 0
; COMPUTE_PGM_RSRC2:TGID_X_EN: 1
; COMPUTE_PGM_RSRC2:TGID_Y_EN: 0
; COMPUTE_PGM_RSRC2:TGID_Z_EN: 0
; COMPUTE_PGM_RSRC2:TIDIG_COMP_CNT: 0
	.section	.text._Z6kernelI14exclusive_scanaLj64ELj64ELj100EEvPKT0_PS1_S1_,"axG",@progbits,_Z6kernelI14exclusive_scanaLj64ELj64ELj100EEvPKT0_PS1_S1_,comdat
	.protected	_Z6kernelI14exclusive_scanaLj64ELj64ELj100EEvPKT0_PS1_S1_ ; -- Begin function _Z6kernelI14exclusive_scanaLj64ELj64ELj100EEvPKT0_PS1_S1_
	.globl	_Z6kernelI14exclusive_scanaLj64ELj64ELj100EEvPKT0_PS1_S1_
	.p2align	8
	.type	_Z6kernelI14exclusive_scanaLj64ELj64ELj100EEvPKT0_PS1_S1_,@function
_Z6kernelI14exclusive_scanaLj64ELj64ELj100EEvPKT0_PS1_S1_: ; @_Z6kernelI14exclusive_scanaLj64ELj64ELj100EEvPKT0_PS1_S1_
; %bb.0:
	s_load_dword s0, s[4:5], 0x24
	s_load_dwordx4 s[12:15], s[4:5], 0x0
	s_load_dword s16, s[4:5], 0x10
	v_mbcnt_lo_u32_b32 v1, -1, 0
	v_mbcnt_hi_u32_b32 v1, -1, v1
	s_waitcnt lgkmcnt(0)
	s_and_b32 s0, s0, 0xffff
	s_mul_i32 s6, s6, s0
	v_add_u32_e32 v0, s6, v0
	global_load_ubyte v3, v0, s[12:13]
	v_and_b32_e32 v2, 15, v1
	v_cmp_eq_u32_e32 vcc, 0, v2
	v_cmp_lt_u32_e64 s[0:1], 1, v2
	v_cmp_lt_u32_e64 s[2:3], 3, v2
	;; [unrolled: 1-line block ×3, first 2 shown]
	v_and_b32_e32 v2, 16, v1
	v_cmp_eq_u32_e64 s[6:7], 0, v2
	v_subrev_co_u32_e64 v2, s[10:11], 1, v1
	v_and_b32_e32 v4, 64, v1
	v_cmp_lt_i32_e64 s[12:13], v2, v4
	v_cmp_lt_u32_e64 s[8:9], 31, v1
	v_cndmask_b32_e64 v1, v2, v1, s[12:13]
	v_lshlrev_b32_e32 v1, 2, v1
	s_movk_i32 s12, 0x64
	v_mov_b32_e32 v2, s16
.LBB77_1:                               ; =>This Inner Loop Header: Depth=1
	s_waitcnt vmcnt(0)
	v_and_b32_e32 v4, 0xff, v3
	s_add_i32 s12, s12, -1
	s_cmp_lg_u32 s12, 0
	v_mov_b32_dpp v4, v4 row_shr:1 row_mask:0xf bank_mask:0xf
	v_cndmask_b32_e64 v4, v4, 0, vcc
	v_add_u16_e32 v3, v4, v3
	v_and_b32_e32 v4, 0xff, v3
	s_nop 1
	v_mov_b32_dpp v4, v4 row_shr:2 row_mask:0xf bank_mask:0xf
	v_cndmask_b32_e64 v4, 0, v4, s[0:1]
	v_add_u16_e32 v3, v3, v4
	v_and_b32_e32 v4, 0xff, v3
	s_nop 1
	v_mov_b32_dpp v4, v4 row_shr:4 row_mask:0xf bank_mask:0xf
	v_cndmask_b32_e64 v4, 0, v4, s[2:3]
	;; [unrolled: 5-line block ×3, first 2 shown]
	v_add_u16_e32 v3, v3, v4
	v_and_b32_e32 v4, 0xff, v3
	s_nop 1
	v_mov_b32_dpp v4, v4 row_bcast:15 row_mask:0xf bank_mask:0xf
	v_cndmask_b32_e64 v4, v4, 0, s[6:7]
	v_add_u16_e32 v3, v3, v4
	v_and_b32_e32 v4, 0xff, v3
	s_nop 1
	v_mov_b32_dpp v4, v4 row_bcast:31 row_mask:0xf bank_mask:0xf
	v_cndmask_b32_e64 v4, 0, v4, s[8:9]
	v_add_u16_e32 v4, s16, v4
	v_add_u16_e32 v3, v4, v3
	v_and_b32_e32 v3, 0xff, v3
	ds_bpermute_b32 v3, v1, v3
	s_waitcnt lgkmcnt(0)
	v_cndmask_b32_e64 v3, v3, v2, s[10:11]
	s_cbranch_scc1 .LBB77_1
; %bb.2:
	v_mov_b32_e32 v1, s15
	v_add_co_u32_e32 v0, vcc, s14, v0
	v_addc_co_u32_e32 v1, vcc, 0, v1, vcc
	global_store_byte v[0:1], v3, off
	s_endpgm
	.section	.rodata,"a",@progbits
	.p2align	6, 0x0
	.amdhsa_kernel _Z6kernelI14exclusive_scanaLj64ELj64ELj100EEvPKT0_PS1_S1_
		.amdhsa_group_segment_fixed_size 0
		.amdhsa_private_segment_fixed_size 0
		.amdhsa_kernarg_size 280
		.amdhsa_user_sgpr_count 6
		.amdhsa_user_sgpr_private_segment_buffer 1
		.amdhsa_user_sgpr_dispatch_ptr 0
		.amdhsa_user_sgpr_queue_ptr 0
		.amdhsa_user_sgpr_kernarg_segment_ptr 1
		.amdhsa_user_sgpr_dispatch_id 0
		.amdhsa_user_sgpr_flat_scratch_init 0
		.amdhsa_user_sgpr_private_segment_size 0
		.amdhsa_uses_dynamic_stack 0
		.amdhsa_system_sgpr_private_segment_wavefront_offset 0
		.amdhsa_system_sgpr_workgroup_id_x 1
		.amdhsa_system_sgpr_workgroup_id_y 0
		.amdhsa_system_sgpr_workgroup_id_z 0
		.amdhsa_system_sgpr_workgroup_info 0
		.amdhsa_system_vgpr_workitem_id 0
		.amdhsa_next_free_vgpr 5
		.amdhsa_next_free_sgpr 17
		.amdhsa_reserve_vcc 1
		.amdhsa_reserve_flat_scratch 0
		.amdhsa_float_round_mode_32 0
		.amdhsa_float_round_mode_16_64 0
		.amdhsa_float_denorm_mode_32 3
		.amdhsa_float_denorm_mode_16_64 3
		.amdhsa_dx10_clamp 1
		.amdhsa_ieee_mode 1
		.amdhsa_fp16_overflow 0
		.amdhsa_exception_fp_ieee_invalid_op 0
		.amdhsa_exception_fp_denorm_src 0
		.amdhsa_exception_fp_ieee_div_zero 0
		.amdhsa_exception_fp_ieee_overflow 0
		.amdhsa_exception_fp_ieee_underflow 0
		.amdhsa_exception_fp_ieee_inexact 0
		.amdhsa_exception_int_div_zero 0
	.end_amdhsa_kernel
	.section	.text._Z6kernelI14exclusive_scanaLj64ELj64ELj100EEvPKT0_PS1_S1_,"axG",@progbits,_Z6kernelI14exclusive_scanaLj64ELj64ELj100EEvPKT0_PS1_S1_,comdat
.Lfunc_end77:
	.size	_Z6kernelI14exclusive_scanaLj64ELj64ELj100EEvPKT0_PS1_S1_, .Lfunc_end77-_Z6kernelI14exclusive_scanaLj64ELj64ELj100EEvPKT0_PS1_S1_
                                        ; -- End function
	.set _Z6kernelI14exclusive_scanaLj64ELj64ELj100EEvPKT0_PS1_S1_.num_vgpr, 5
	.set _Z6kernelI14exclusive_scanaLj64ELj64ELj100EEvPKT0_PS1_S1_.num_agpr, 0
	.set _Z6kernelI14exclusive_scanaLj64ELj64ELj100EEvPKT0_PS1_S1_.numbered_sgpr, 17
	.set _Z6kernelI14exclusive_scanaLj64ELj64ELj100EEvPKT0_PS1_S1_.num_named_barrier, 0
	.set _Z6kernelI14exclusive_scanaLj64ELj64ELj100EEvPKT0_PS1_S1_.private_seg_size, 0
	.set _Z6kernelI14exclusive_scanaLj64ELj64ELj100EEvPKT0_PS1_S1_.uses_vcc, 1
	.set _Z6kernelI14exclusive_scanaLj64ELj64ELj100EEvPKT0_PS1_S1_.uses_flat_scratch, 0
	.set _Z6kernelI14exclusive_scanaLj64ELj64ELj100EEvPKT0_PS1_S1_.has_dyn_sized_stack, 0
	.set _Z6kernelI14exclusive_scanaLj64ELj64ELj100EEvPKT0_PS1_S1_.has_recursion, 0
	.set _Z6kernelI14exclusive_scanaLj64ELj64ELj100EEvPKT0_PS1_S1_.has_indirect_call, 0
	.section	.AMDGPU.csdata,"",@progbits
; Kernel info:
; codeLenInByte = 420
; TotalNumSgprs: 21
; NumVgprs: 5
; ScratchSize: 0
; MemoryBound: 0
; FloatMode: 240
; IeeeMode: 1
; LDSByteSize: 0 bytes/workgroup (compile time only)
; SGPRBlocks: 2
; VGPRBlocks: 1
; NumSGPRsForWavesPerEU: 21
; NumVGPRsForWavesPerEU: 5
; Occupancy: 10
; WaveLimiterHint : 0
; COMPUTE_PGM_RSRC2:SCRATCH_EN: 0
; COMPUTE_PGM_RSRC2:USER_SGPR: 6
; COMPUTE_PGM_RSRC2:TRAP_HANDLER: 0
; COMPUTE_PGM_RSRC2:TGID_X_EN: 1
; COMPUTE_PGM_RSRC2:TGID_Y_EN: 0
; COMPUTE_PGM_RSRC2:TGID_Z_EN: 0
; COMPUTE_PGM_RSRC2:TIDIG_COMP_CNT: 0
	.section	.text._Z6kernelI14exclusive_scanaLj128ELj64ELj100EEvPKT0_PS1_S1_,"axG",@progbits,_Z6kernelI14exclusive_scanaLj128ELj64ELj100EEvPKT0_PS1_S1_,comdat
	.protected	_Z6kernelI14exclusive_scanaLj128ELj64ELj100EEvPKT0_PS1_S1_ ; -- Begin function _Z6kernelI14exclusive_scanaLj128ELj64ELj100EEvPKT0_PS1_S1_
	.globl	_Z6kernelI14exclusive_scanaLj128ELj64ELj100EEvPKT0_PS1_S1_
	.p2align	8
	.type	_Z6kernelI14exclusive_scanaLj128ELj64ELj100EEvPKT0_PS1_S1_,@function
_Z6kernelI14exclusive_scanaLj128ELj64ELj100EEvPKT0_PS1_S1_: ; @_Z6kernelI14exclusive_scanaLj128ELj64ELj100EEvPKT0_PS1_S1_
; %bb.0:
	s_load_dword s0, s[4:5], 0x24
	s_load_dwordx4 s[12:15], s[4:5], 0x0
	s_load_dword s16, s[4:5], 0x10
	v_mbcnt_lo_u32_b32 v1, -1, 0
	v_mbcnt_hi_u32_b32 v1, -1, v1
	s_waitcnt lgkmcnt(0)
	s_and_b32 s0, s0, 0xffff
	s_mul_i32 s6, s6, s0
	v_add_u32_e32 v0, s6, v0
	global_load_ubyte v3, v0, s[12:13]
	v_and_b32_e32 v2, 15, v1
	v_cmp_eq_u32_e32 vcc, 0, v2
	v_cmp_lt_u32_e64 s[0:1], 1, v2
	v_cmp_lt_u32_e64 s[2:3], 3, v2
	;; [unrolled: 1-line block ×3, first 2 shown]
	v_and_b32_e32 v2, 16, v1
	v_cmp_eq_u32_e64 s[6:7], 0, v2
	v_subrev_co_u32_e64 v2, s[10:11], 1, v1
	v_and_b32_e32 v4, 64, v1
	v_cmp_lt_i32_e64 s[12:13], v2, v4
	v_cmp_lt_u32_e64 s[8:9], 31, v1
	v_cndmask_b32_e64 v1, v2, v1, s[12:13]
	v_lshlrev_b32_e32 v1, 2, v1
	s_movk_i32 s12, 0x64
	v_mov_b32_e32 v2, s16
.LBB78_1:                               ; =>This Inner Loop Header: Depth=1
	s_waitcnt vmcnt(0)
	v_and_b32_e32 v4, 0xff, v3
	s_add_i32 s12, s12, -1
	s_cmp_lg_u32 s12, 0
	v_mov_b32_dpp v4, v4 row_shr:1 row_mask:0xf bank_mask:0xf
	v_cndmask_b32_e64 v4, v4, 0, vcc
	v_add_u16_e32 v3, v4, v3
	v_and_b32_e32 v4, 0xff, v3
	s_nop 1
	v_mov_b32_dpp v4, v4 row_shr:2 row_mask:0xf bank_mask:0xf
	v_cndmask_b32_e64 v4, 0, v4, s[0:1]
	v_add_u16_e32 v3, v3, v4
	v_and_b32_e32 v4, 0xff, v3
	s_nop 1
	v_mov_b32_dpp v4, v4 row_shr:4 row_mask:0xf bank_mask:0xf
	v_cndmask_b32_e64 v4, 0, v4, s[2:3]
	;; [unrolled: 5-line block ×3, first 2 shown]
	v_add_u16_e32 v3, v3, v4
	v_and_b32_e32 v4, 0xff, v3
	s_nop 1
	v_mov_b32_dpp v4, v4 row_bcast:15 row_mask:0xf bank_mask:0xf
	v_cndmask_b32_e64 v4, v4, 0, s[6:7]
	v_add_u16_e32 v3, v3, v4
	v_and_b32_e32 v4, 0xff, v3
	s_nop 1
	v_mov_b32_dpp v4, v4 row_bcast:31 row_mask:0xf bank_mask:0xf
	v_cndmask_b32_e64 v4, 0, v4, s[8:9]
	v_add_u16_e32 v4, s16, v4
	v_add_u16_e32 v3, v4, v3
	v_and_b32_e32 v3, 0xff, v3
	ds_bpermute_b32 v3, v1, v3
	s_waitcnt lgkmcnt(0)
	v_cndmask_b32_e64 v3, v3, v2, s[10:11]
	s_cbranch_scc1 .LBB78_1
; %bb.2:
	v_mov_b32_e32 v1, s15
	v_add_co_u32_e32 v0, vcc, s14, v0
	v_addc_co_u32_e32 v1, vcc, 0, v1, vcc
	global_store_byte v[0:1], v3, off
	s_endpgm
	.section	.rodata,"a",@progbits
	.p2align	6, 0x0
	.amdhsa_kernel _Z6kernelI14exclusive_scanaLj128ELj64ELj100EEvPKT0_PS1_S1_
		.amdhsa_group_segment_fixed_size 0
		.amdhsa_private_segment_fixed_size 0
		.amdhsa_kernarg_size 280
		.amdhsa_user_sgpr_count 6
		.amdhsa_user_sgpr_private_segment_buffer 1
		.amdhsa_user_sgpr_dispatch_ptr 0
		.amdhsa_user_sgpr_queue_ptr 0
		.amdhsa_user_sgpr_kernarg_segment_ptr 1
		.amdhsa_user_sgpr_dispatch_id 0
		.amdhsa_user_sgpr_flat_scratch_init 0
		.amdhsa_user_sgpr_private_segment_size 0
		.amdhsa_uses_dynamic_stack 0
		.amdhsa_system_sgpr_private_segment_wavefront_offset 0
		.amdhsa_system_sgpr_workgroup_id_x 1
		.amdhsa_system_sgpr_workgroup_id_y 0
		.amdhsa_system_sgpr_workgroup_id_z 0
		.amdhsa_system_sgpr_workgroup_info 0
		.amdhsa_system_vgpr_workitem_id 0
		.amdhsa_next_free_vgpr 5
		.amdhsa_next_free_sgpr 17
		.amdhsa_reserve_vcc 1
		.amdhsa_reserve_flat_scratch 0
		.amdhsa_float_round_mode_32 0
		.amdhsa_float_round_mode_16_64 0
		.amdhsa_float_denorm_mode_32 3
		.amdhsa_float_denorm_mode_16_64 3
		.amdhsa_dx10_clamp 1
		.amdhsa_ieee_mode 1
		.amdhsa_fp16_overflow 0
		.amdhsa_exception_fp_ieee_invalid_op 0
		.amdhsa_exception_fp_denorm_src 0
		.amdhsa_exception_fp_ieee_div_zero 0
		.amdhsa_exception_fp_ieee_overflow 0
		.amdhsa_exception_fp_ieee_underflow 0
		.amdhsa_exception_fp_ieee_inexact 0
		.amdhsa_exception_int_div_zero 0
	.end_amdhsa_kernel
	.section	.text._Z6kernelI14exclusive_scanaLj128ELj64ELj100EEvPKT0_PS1_S1_,"axG",@progbits,_Z6kernelI14exclusive_scanaLj128ELj64ELj100EEvPKT0_PS1_S1_,comdat
.Lfunc_end78:
	.size	_Z6kernelI14exclusive_scanaLj128ELj64ELj100EEvPKT0_PS1_S1_, .Lfunc_end78-_Z6kernelI14exclusive_scanaLj128ELj64ELj100EEvPKT0_PS1_S1_
                                        ; -- End function
	.set _Z6kernelI14exclusive_scanaLj128ELj64ELj100EEvPKT0_PS1_S1_.num_vgpr, 5
	.set _Z6kernelI14exclusive_scanaLj128ELj64ELj100EEvPKT0_PS1_S1_.num_agpr, 0
	.set _Z6kernelI14exclusive_scanaLj128ELj64ELj100EEvPKT0_PS1_S1_.numbered_sgpr, 17
	.set _Z6kernelI14exclusive_scanaLj128ELj64ELj100EEvPKT0_PS1_S1_.num_named_barrier, 0
	.set _Z6kernelI14exclusive_scanaLj128ELj64ELj100EEvPKT0_PS1_S1_.private_seg_size, 0
	.set _Z6kernelI14exclusive_scanaLj128ELj64ELj100EEvPKT0_PS1_S1_.uses_vcc, 1
	.set _Z6kernelI14exclusive_scanaLj128ELj64ELj100EEvPKT0_PS1_S1_.uses_flat_scratch, 0
	.set _Z6kernelI14exclusive_scanaLj128ELj64ELj100EEvPKT0_PS1_S1_.has_dyn_sized_stack, 0
	.set _Z6kernelI14exclusive_scanaLj128ELj64ELj100EEvPKT0_PS1_S1_.has_recursion, 0
	.set _Z6kernelI14exclusive_scanaLj128ELj64ELj100EEvPKT0_PS1_S1_.has_indirect_call, 0
	.section	.AMDGPU.csdata,"",@progbits
; Kernel info:
; codeLenInByte = 420
; TotalNumSgprs: 21
; NumVgprs: 5
; ScratchSize: 0
; MemoryBound: 0
; FloatMode: 240
; IeeeMode: 1
; LDSByteSize: 0 bytes/workgroup (compile time only)
; SGPRBlocks: 2
; VGPRBlocks: 1
; NumSGPRsForWavesPerEU: 21
; NumVGPRsForWavesPerEU: 5
; Occupancy: 10
; WaveLimiterHint : 0
; COMPUTE_PGM_RSRC2:SCRATCH_EN: 0
; COMPUTE_PGM_RSRC2:USER_SGPR: 6
; COMPUTE_PGM_RSRC2:TRAP_HANDLER: 0
; COMPUTE_PGM_RSRC2:TGID_X_EN: 1
; COMPUTE_PGM_RSRC2:TGID_Y_EN: 0
; COMPUTE_PGM_RSRC2:TGID_Z_EN: 0
; COMPUTE_PGM_RSRC2:TIDIG_COMP_CNT: 0
	.section	.text._Z6kernelI14exclusive_scanaLj256ELj64ELj100EEvPKT0_PS1_S1_,"axG",@progbits,_Z6kernelI14exclusive_scanaLj256ELj64ELj100EEvPKT0_PS1_S1_,comdat
	.protected	_Z6kernelI14exclusive_scanaLj256ELj64ELj100EEvPKT0_PS1_S1_ ; -- Begin function _Z6kernelI14exclusive_scanaLj256ELj64ELj100EEvPKT0_PS1_S1_
	.globl	_Z6kernelI14exclusive_scanaLj256ELj64ELj100EEvPKT0_PS1_S1_
	.p2align	8
	.type	_Z6kernelI14exclusive_scanaLj256ELj64ELj100EEvPKT0_PS1_S1_,@function
_Z6kernelI14exclusive_scanaLj256ELj64ELj100EEvPKT0_PS1_S1_: ; @_Z6kernelI14exclusive_scanaLj256ELj64ELj100EEvPKT0_PS1_S1_
; %bb.0:
	s_load_dword s0, s[4:5], 0x24
	s_load_dwordx4 s[12:15], s[4:5], 0x0
	s_load_dword s16, s[4:5], 0x10
	v_mbcnt_lo_u32_b32 v1, -1, 0
	v_mbcnt_hi_u32_b32 v1, -1, v1
	s_waitcnt lgkmcnt(0)
	s_and_b32 s0, s0, 0xffff
	s_mul_i32 s6, s6, s0
	v_add_u32_e32 v0, s6, v0
	global_load_ubyte v3, v0, s[12:13]
	v_and_b32_e32 v2, 15, v1
	v_cmp_eq_u32_e32 vcc, 0, v2
	v_cmp_lt_u32_e64 s[0:1], 1, v2
	v_cmp_lt_u32_e64 s[2:3], 3, v2
	v_cmp_lt_u32_e64 s[4:5], 7, v2
	v_and_b32_e32 v2, 16, v1
	v_cmp_eq_u32_e64 s[6:7], 0, v2
	v_subrev_co_u32_e64 v2, s[10:11], 1, v1
	v_and_b32_e32 v4, 64, v1
	v_cmp_lt_i32_e64 s[12:13], v2, v4
	v_cmp_lt_u32_e64 s[8:9], 31, v1
	v_cndmask_b32_e64 v1, v2, v1, s[12:13]
	v_lshlrev_b32_e32 v1, 2, v1
	s_movk_i32 s12, 0x64
	v_mov_b32_e32 v2, s16
.LBB79_1:                               ; =>This Inner Loop Header: Depth=1
	s_waitcnt vmcnt(0)
	v_and_b32_e32 v4, 0xff, v3
	s_add_i32 s12, s12, -1
	s_cmp_lg_u32 s12, 0
	v_mov_b32_dpp v4, v4 row_shr:1 row_mask:0xf bank_mask:0xf
	v_cndmask_b32_e64 v4, v4, 0, vcc
	v_add_u16_e32 v3, v4, v3
	v_and_b32_e32 v4, 0xff, v3
	s_nop 1
	v_mov_b32_dpp v4, v4 row_shr:2 row_mask:0xf bank_mask:0xf
	v_cndmask_b32_e64 v4, 0, v4, s[0:1]
	v_add_u16_e32 v3, v3, v4
	v_and_b32_e32 v4, 0xff, v3
	s_nop 1
	v_mov_b32_dpp v4, v4 row_shr:4 row_mask:0xf bank_mask:0xf
	v_cndmask_b32_e64 v4, 0, v4, s[2:3]
	;; [unrolled: 5-line block ×3, first 2 shown]
	v_add_u16_e32 v3, v3, v4
	v_and_b32_e32 v4, 0xff, v3
	s_nop 1
	v_mov_b32_dpp v4, v4 row_bcast:15 row_mask:0xf bank_mask:0xf
	v_cndmask_b32_e64 v4, v4, 0, s[6:7]
	v_add_u16_e32 v3, v3, v4
	v_and_b32_e32 v4, 0xff, v3
	s_nop 1
	v_mov_b32_dpp v4, v4 row_bcast:31 row_mask:0xf bank_mask:0xf
	v_cndmask_b32_e64 v4, 0, v4, s[8:9]
	v_add_u16_e32 v4, s16, v4
	v_add_u16_e32 v3, v4, v3
	v_and_b32_e32 v3, 0xff, v3
	ds_bpermute_b32 v3, v1, v3
	s_waitcnt lgkmcnt(0)
	v_cndmask_b32_e64 v3, v3, v2, s[10:11]
	s_cbranch_scc1 .LBB79_1
; %bb.2:
	v_mov_b32_e32 v1, s15
	v_add_co_u32_e32 v0, vcc, s14, v0
	v_addc_co_u32_e32 v1, vcc, 0, v1, vcc
	global_store_byte v[0:1], v3, off
	s_endpgm
	.section	.rodata,"a",@progbits
	.p2align	6, 0x0
	.amdhsa_kernel _Z6kernelI14exclusive_scanaLj256ELj64ELj100EEvPKT0_PS1_S1_
		.amdhsa_group_segment_fixed_size 0
		.amdhsa_private_segment_fixed_size 0
		.amdhsa_kernarg_size 280
		.amdhsa_user_sgpr_count 6
		.amdhsa_user_sgpr_private_segment_buffer 1
		.amdhsa_user_sgpr_dispatch_ptr 0
		.amdhsa_user_sgpr_queue_ptr 0
		.amdhsa_user_sgpr_kernarg_segment_ptr 1
		.amdhsa_user_sgpr_dispatch_id 0
		.amdhsa_user_sgpr_flat_scratch_init 0
		.amdhsa_user_sgpr_private_segment_size 0
		.amdhsa_uses_dynamic_stack 0
		.amdhsa_system_sgpr_private_segment_wavefront_offset 0
		.amdhsa_system_sgpr_workgroup_id_x 1
		.amdhsa_system_sgpr_workgroup_id_y 0
		.amdhsa_system_sgpr_workgroup_id_z 0
		.amdhsa_system_sgpr_workgroup_info 0
		.amdhsa_system_vgpr_workitem_id 0
		.amdhsa_next_free_vgpr 5
		.amdhsa_next_free_sgpr 17
		.amdhsa_reserve_vcc 1
		.amdhsa_reserve_flat_scratch 0
		.amdhsa_float_round_mode_32 0
		.amdhsa_float_round_mode_16_64 0
		.amdhsa_float_denorm_mode_32 3
		.amdhsa_float_denorm_mode_16_64 3
		.amdhsa_dx10_clamp 1
		.amdhsa_ieee_mode 1
		.amdhsa_fp16_overflow 0
		.amdhsa_exception_fp_ieee_invalid_op 0
		.amdhsa_exception_fp_denorm_src 0
		.amdhsa_exception_fp_ieee_div_zero 0
		.amdhsa_exception_fp_ieee_overflow 0
		.amdhsa_exception_fp_ieee_underflow 0
		.amdhsa_exception_fp_ieee_inexact 0
		.amdhsa_exception_int_div_zero 0
	.end_amdhsa_kernel
	.section	.text._Z6kernelI14exclusive_scanaLj256ELj64ELj100EEvPKT0_PS1_S1_,"axG",@progbits,_Z6kernelI14exclusive_scanaLj256ELj64ELj100EEvPKT0_PS1_S1_,comdat
.Lfunc_end79:
	.size	_Z6kernelI14exclusive_scanaLj256ELj64ELj100EEvPKT0_PS1_S1_, .Lfunc_end79-_Z6kernelI14exclusive_scanaLj256ELj64ELj100EEvPKT0_PS1_S1_
                                        ; -- End function
	.set _Z6kernelI14exclusive_scanaLj256ELj64ELj100EEvPKT0_PS1_S1_.num_vgpr, 5
	.set _Z6kernelI14exclusive_scanaLj256ELj64ELj100EEvPKT0_PS1_S1_.num_agpr, 0
	.set _Z6kernelI14exclusive_scanaLj256ELj64ELj100EEvPKT0_PS1_S1_.numbered_sgpr, 17
	.set _Z6kernelI14exclusive_scanaLj256ELj64ELj100EEvPKT0_PS1_S1_.num_named_barrier, 0
	.set _Z6kernelI14exclusive_scanaLj256ELj64ELj100EEvPKT0_PS1_S1_.private_seg_size, 0
	.set _Z6kernelI14exclusive_scanaLj256ELj64ELj100EEvPKT0_PS1_S1_.uses_vcc, 1
	.set _Z6kernelI14exclusive_scanaLj256ELj64ELj100EEvPKT0_PS1_S1_.uses_flat_scratch, 0
	.set _Z6kernelI14exclusive_scanaLj256ELj64ELj100EEvPKT0_PS1_S1_.has_dyn_sized_stack, 0
	.set _Z6kernelI14exclusive_scanaLj256ELj64ELj100EEvPKT0_PS1_S1_.has_recursion, 0
	.set _Z6kernelI14exclusive_scanaLj256ELj64ELj100EEvPKT0_PS1_S1_.has_indirect_call, 0
	.section	.AMDGPU.csdata,"",@progbits
; Kernel info:
; codeLenInByte = 420
; TotalNumSgprs: 21
; NumVgprs: 5
; ScratchSize: 0
; MemoryBound: 0
; FloatMode: 240
; IeeeMode: 1
; LDSByteSize: 0 bytes/workgroup (compile time only)
; SGPRBlocks: 2
; VGPRBlocks: 1
; NumSGPRsForWavesPerEU: 21
; NumVGPRsForWavesPerEU: 5
; Occupancy: 10
; WaveLimiterHint : 0
; COMPUTE_PGM_RSRC2:SCRATCH_EN: 0
; COMPUTE_PGM_RSRC2:USER_SGPR: 6
; COMPUTE_PGM_RSRC2:TRAP_HANDLER: 0
; COMPUTE_PGM_RSRC2:TGID_X_EN: 1
; COMPUTE_PGM_RSRC2:TGID_Y_EN: 0
; COMPUTE_PGM_RSRC2:TGID_Z_EN: 0
; COMPUTE_PGM_RSRC2:TIDIG_COMP_CNT: 0
	.section	.text._Z6kernelI14exclusive_scanN15benchmark_utils11custom_typeIddEELj60ELj15ELj100EEvPKT0_PS4_S4_,"axG",@progbits,_Z6kernelI14exclusive_scanN15benchmark_utils11custom_typeIddEELj60ELj15ELj100EEvPKT0_PS4_S4_,comdat
	.protected	_Z6kernelI14exclusive_scanN15benchmark_utils11custom_typeIddEELj60ELj15ELj100EEvPKT0_PS4_S4_ ; -- Begin function _Z6kernelI14exclusive_scanN15benchmark_utils11custom_typeIddEELj60ELj15ELj100EEvPKT0_PS4_S4_
	.globl	_Z6kernelI14exclusive_scanN15benchmark_utils11custom_typeIddEELj60ELj15ELj100EEvPKT0_PS4_S4_
	.p2align	8
	.type	_Z6kernelI14exclusive_scanN15benchmark_utils11custom_typeIddEELj60ELj15ELj100EEvPKT0_PS4_S4_,@function
_Z6kernelI14exclusive_scanN15benchmark_utils11custom_typeIddEELj60ELj15ELj100EEvPKT0_PS4_S4_: ; @_Z6kernelI14exclusive_scanN15benchmark_utils11custom_typeIddEELj60ELj15ELj100EEvPKT0_PS4_S4_
; %bb.0:
	s_load_dword s0, s[4:5], 0x2c
	s_load_dwordx8 s[8:15], s[4:5], 0x0
	v_mov_b32_e32 v1, 0
	v_mbcnt_lo_u32_b32 v6, -1, 0
	v_mbcnt_hi_u32_b32 v6, -1, v6
	s_waitcnt lgkmcnt(0)
	s_and_b32 s0, s0, 0xffff
	s_mul_i32 s6, s6, s0
	v_add_u32_e32 v0, s6, v0
	v_lshlrev_b64 v[4:5], 4, v[0:1]
	v_mov_b32_e32 v1, s9
	v_add_co_u32_e32 v0, vcc, s8, v4
	v_addc_co_u32_e32 v1, vcc, v1, v5, vcc
	global_load_dwordx4 v[0:3], v[0:1], off
	s_mov_b32 s0, 0x11111112
	v_mul_hi_u32 v7, v6, s0
	s_movk_i32 s8, 0x64
	v_mul_u32_u24_e32 v7, 15, v7
	v_sub_u32_e32 v7, v6, v7
	v_lshlrev_b32_e32 v6, 4, v7
	v_cmp_ne_u32_e32 vcc, 0, v7
	v_cmp_lt_u32_e64 s[0:1], 1, v7
	v_cmp_lt_u32_e64 s[2:3], 3, v7
	;; [unrolled: 1-line block ×3, first 2 shown]
	v_add_u32_e32 v7, -16, v6
	v_subrev_u32_e32 v8, 32, v6
	v_subrev_u32_e32 v9, 64, v6
	v_add_u32_e32 v10, 0xffffff80, v6
	s_branch .LBB80_2
.LBB80_1:                               ;   in Loop: Header=BB80_2 Depth=1
	s_or_b64 exec, exec, s[6:7]
	s_add_i32 s8, s8, -1
	s_cmp_lg_u32 s8, 0
	s_cbranch_scc0 .LBB80_20
.LBB80_2:                               ; =>This Inner Loop Header: Depth=1
	s_waitcnt vmcnt(0)
	ds_write2_b64 v6, v[0:1], v[2:3] offset1:1
	; wave barrier
	s_and_saveexec_b64 s[6:7], vcc
	s_cbranch_execz .LBB80_4
; %bb.3:                                ;   in Loop: Header=BB80_2 Depth=1
	ds_read2_b64 v[11:14], v7 offset1:1
	s_waitcnt lgkmcnt(0)
	v_add_f64 v[0:1], v[0:1], v[11:12]
	v_add_f64 v[2:3], v[2:3], v[13:14]
.LBB80_4:                               ;   in Loop: Header=BB80_2 Depth=1
	s_or_b64 exec, exec, s[6:7]
	; wave barrier
	s_and_saveexec_b64 s[6:7], vcc
; %bb.5:                                ;   in Loop: Header=BB80_2 Depth=1
	ds_write2_b64 v6, v[0:1], v[2:3] offset1:1
; %bb.6:                                ;   in Loop: Header=BB80_2 Depth=1
	s_or_b64 exec, exec, s[6:7]
	; wave barrier
	s_and_saveexec_b64 s[6:7], s[0:1]
	s_cbranch_execz .LBB80_8
; %bb.7:                                ;   in Loop: Header=BB80_2 Depth=1
	ds_read2_b64 v[11:14], v8 offset1:1
	s_waitcnt lgkmcnt(0)
	v_add_f64 v[0:1], v[0:1], v[11:12]
	v_add_f64 v[2:3], v[2:3], v[13:14]
.LBB80_8:                               ;   in Loop: Header=BB80_2 Depth=1
	s_or_b64 exec, exec, s[6:7]
	; wave barrier
	s_and_saveexec_b64 s[6:7], s[0:1]
; %bb.9:                                ;   in Loop: Header=BB80_2 Depth=1
	ds_write2_b64 v6, v[0:1], v[2:3] offset1:1
; %bb.10:                               ;   in Loop: Header=BB80_2 Depth=1
	s_or_b64 exec, exec, s[6:7]
	; wave barrier
	s_and_saveexec_b64 s[6:7], s[2:3]
	s_cbranch_execz .LBB80_12
; %bb.11:                               ;   in Loop: Header=BB80_2 Depth=1
	ds_read2_b64 v[11:14], v9 offset1:1
	s_waitcnt lgkmcnt(0)
	v_add_f64 v[0:1], v[0:1], v[11:12]
	v_add_f64 v[2:3], v[2:3], v[13:14]
.LBB80_12:                              ;   in Loop: Header=BB80_2 Depth=1
	s_or_b64 exec, exec, s[6:7]
	; wave barrier
	s_and_saveexec_b64 s[6:7], s[2:3]
; %bb.13:                               ;   in Loop: Header=BB80_2 Depth=1
	ds_write2_b64 v6, v[0:1], v[2:3] offset1:1
; %bb.14:                               ;   in Loop: Header=BB80_2 Depth=1
	s_or_b64 exec, exec, s[6:7]
	; wave barrier
	s_and_saveexec_b64 s[6:7], s[4:5]
	s_cbranch_execz .LBB80_16
; %bb.15:                               ;   in Loop: Header=BB80_2 Depth=1
	ds_read2_b64 v[11:14], v10 offset1:1
	s_waitcnt lgkmcnt(0)
	v_add_f64 v[0:1], v[0:1], v[11:12]
	v_add_f64 v[2:3], v[2:3], v[13:14]
.LBB80_16:                              ;   in Loop: Header=BB80_2 Depth=1
	s_or_b64 exec, exec, s[6:7]
	; wave barrier
	s_and_saveexec_b64 s[6:7], s[4:5]
; %bb.17:                               ;   in Loop: Header=BB80_2 Depth=1
	ds_write2_b64 v6, v[0:1], v[2:3] offset1:1
; %bb.18:                               ;   in Loop: Header=BB80_2 Depth=1
	s_or_b64 exec, exec, s[6:7]
	v_mov_b32_e32 v0, s12
	v_mov_b32_e32 v2, s14
	;; [unrolled: 1-line block ×4, first 2 shown]
	; wave barrier
	s_and_saveexec_b64 s[6:7], vcc
	s_cbranch_execz .LBB80_1
; %bb.19:                               ;   in Loop: Header=BB80_2 Depth=1
	ds_read2_b64 v[0:3], v7 offset1:1
	s_waitcnt lgkmcnt(0)
	v_add_f64 v[0:1], s[12:13], v[0:1]
	v_add_f64 v[2:3], s[14:15], v[2:3]
	s_branch .LBB80_1
.LBB80_20:
	v_mov_b32_e32 v6, s11
	v_add_co_u32_e32 v4, vcc, s10, v4
	v_addc_co_u32_e32 v5, vcc, v6, v5, vcc
	global_store_dwordx4 v[4:5], v[0:3], off
	s_endpgm
	.section	.rodata,"a",@progbits
	.p2align	6, 0x0
	.amdhsa_kernel _Z6kernelI14exclusive_scanN15benchmark_utils11custom_typeIddEELj60ELj15ELj100EEvPKT0_PS4_S4_
		.amdhsa_group_segment_fixed_size 240
		.amdhsa_private_segment_fixed_size 0
		.amdhsa_kernarg_size 288
		.amdhsa_user_sgpr_count 6
		.amdhsa_user_sgpr_private_segment_buffer 1
		.amdhsa_user_sgpr_dispatch_ptr 0
		.amdhsa_user_sgpr_queue_ptr 0
		.amdhsa_user_sgpr_kernarg_segment_ptr 1
		.amdhsa_user_sgpr_dispatch_id 0
		.amdhsa_user_sgpr_flat_scratch_init 0
		.amdhsa_user_sgpr_private_segment_size 0
		.amdhsa_uses_dynamic_stack 0
		.amdhsa_system_sgpr_private_segment_wavefront_offset 0
		.amdhsa_system_sgpr_workgroup_id_x 1
		.amdhsa_system_sgpr_workgroup_id_y 0
		.amdhsa_system_sgpr_workgroup_id_z 0
		.amdhsa_system_sgpr_workgroup_info 0
		.amdhsa_system_vgpr_workitem_id 0
		.amdhsa_next_free_vgpr 15
		.amdhsa_next_free_sgpr 16
		.amdhsa_reserve_vcc 1
		.amdhsa_reserve_flat_scratch 0
		.amdhsa_float_round_mode_32 0
		.amdhsa_float_round_mode_16_64 0
		.amdhsa_float_denorm_mode_32 3
		.amdhsa_float_denorm_mode_16_64 3
		.amdhsa_dx10_clamp 1
		.amdhsa_ieee_mode 1
		.amdhsa_fp16_overflow 0
		.amdhsa_exception_fp_ieee_invalid_op 0
		.amdhsa_exception_fp_denorm_src 0
		.amdhsa_exception_fp_ieee_div_zero 0
		.amdhsa_exception_fp_ieee_overflow 0
		.amdhsa_exception_fp_ieee_underflow 0
		.amdhsa_exception_fp_ieee_inexact 0
		.amdhsa_exception_int_div_zero 0
	.end_amdhsa_kernel
	.section	.text._Z6kernelI14exclusive_scanN15benchmark_utils11custom_typeIddEELj60ELj15ELj100EEvPKT0_PS4_S4_,"axG",@progbits,_Z6kernelI14exclusive_scanN15benchmark_utils11custom_typeIddEELj60ELj15ELj100EEvPKT0_PS4_S4_,comdat
.Lfunc_end80:
	.size	_Z6kernelI14exclusive_scanN15benchmark_utils11custom_typeIddEELj60ELj15ELj100EEvPKT0_PS4_S4_, .Lfunc_end80-_Z6kernelI14exclusive_scanN15benchmark_utils11custom_typeIddEELj60ELj15ELj100EEvPKT0_PS4_S4_
                                        ; -- End function
	.set _Z6kernelI14exclusive_scanN15benchmark_utils11custom_typeIddEELj60ELj15ELj100EEvPKT0_PS4_S4_.num_vgpr, 15
	.set _Z6kernelI14exclusive_scanN15benchmark_utils11custom_typeIddEELj60ELj15ELj100EEvPKT0_PS4_S4_.num_agpr, 0
	.set _Z6kernelI14exclusive_scanN15benchmark_utils11custom_typeIddEELj60ELj15ELj100EEvPKT0_PS4_S4_.numbered_sgpr, 16
	.set _Z6kernelI14exclusive_scanN15benchmark_utils11custom_typeIddEELj60ELj15ELj100EEvPKT0_PS4_S4_.num_named_barrier, 0
	.set _Z6kernelI14exclusive_scanN15benchmark_utils11custom_typeIddEELj60ELj15ELj100EEvPKT0_PS4_S4_.private_seg_size, 0
	.set _Z6kernelI14exclusive_scanN15benchmark_utils11custom_typeIddEELj60ELj15ELj100EEvPKT0_PS4_S4_.uses_vcc, 1
	.set _Z6kernelI14exclusive_scanN15benchmark_utils11custom_typeIddEELj60ELj15ELj100EEvPKT0_PS4_S4_.uses_flat_scratch, 0
	.set _Z6kernelI14exclusive_scanN15benchmark_utils11custom_typeIddEELj60ELj15ELj100EEvPKT0_PS4_S4_.has_dyn_sized_stack, 0
	.set _Z6kernelI14exclusive_scanN15benchmark_utils11custom_typeIddEELj60ELj15ELj100EEvPKT0_PS4_S4_.has_recursion, 0
	.set _Z6kernelI14exclusive_scanN15benchmark_utils11custom_typeIddEELj60ELj15ELj100EEvPKT0_PS4_S4_.has_indirect_call, 0
	.section	.AMDGPU.csdata,"",@progbits
; Kernel info:
; codeLenInByte = 500
; TotalNumSgprs: 20
; NumVgprs: 15
; ScratchSize: 0
; MemoryBound: 0
; FloatMode: 240
; IeeeMode: 1
; LDSByteSize: 240 bytes/workgroup (compile time only)
; SGPRBlocks: 2
; VGPRBlocks: 3
; NumSGPRsForWavesPerEU: 20
; NumVGPRsForWavesPerEU: 15
; Occupancy: 10
; WaveLimiterHint : 0
; COMPUTE_PGM_RSRC2:SCRATCH_EN: 0
; COMPUTE_PGM_RSRC2:USER_SGPR: 6
; COMPUTE_PGM_RSRC2:TRAP_HANDLER: 0
; COMPUTE_PGM_RSRC2:TGID_X_EN: 1
; COMPUTE_PGM_RSRC2:TGID_Y_EN: 0
; COMPUTE_PGM_RSRC2:TGID_Z_EN: 0
; COMPUTE_PGM_RSRC2:TIDIG_COMP_CNT: 0
	.section	.text._Z6kernelI14exclusive_scanN15benchmark_utils11custom_typeIddEELj256ELj16ELj100EEvPKT0_PS4_S4_,"axG",@progbits,_Z6kernelI14exclusive_scanN15benchmark_utils11custom_typeIddEELj256ELj16ELj100EEvPKT0_PS4_S4_,comdat
	.protected	_Z6kernelI14exclusive_scanN15benchmark_utils11custom_typeIddEELj256ELj16ELj100EEvPKT0_PS4_S4_ ; -- Begin function _Z6kernelI14exclusive_scanN15benchmark_utils11custom_typeIddEELj256ELj16ELj100EEvPKT0_PS4_S4_
	.globl	_Z6kernelI14exclusive_scanN15benchmark_utils11custom_typeIddEELj256ELj16ELj100EEvPKT0_PS4_S4_
	.p2align	8
	.type	_Z6kernelI14exclusive_scanN15benchmark_utils11custom_typeIddEELj256ELj16ELj100EEvPKT0_PS4_S4_,@function
_Z6kernelI14exclusive_scanN15benchmark_utils11custom_typeIddEELj256ELj16ELj100EEvPKT0_PS4_S4_: ; @_Z6kernelI14exclusive_scanN15benchmark_utils11custom_typeIddEELj256ELj16ELj100EEvPKT0_PS4_S4_
; %bb.0:
	s_load_dword s0, s[4:5], 0x2c
	s_load_dwordx8 s[8:15], s[4:5], 0x0
	v_mov_b32_e32 v1, 0
	v_mbcnt_lo_u32_b32 v6, -1, 0
	v_mbcnt_hi_u32_b32 v6, -1, v6
	s_waitcnt lgkmcnt(0)
	s_and_b32 s0, s0, 0xffff
	s_mul_i32 s6, s6, s0
	v_add_u32_e32 v0, s6, v0
	v_lshlrev_b64 v[4:5], 4, v[0:1]
	v_mov_b32_e32 v1, s9
	v_add_co_u32_e32 v0, vcc, s8, v4
	v_addc_co_u32_e32 v1, vcc, v1, v5, vcc
	global_load_dwordx4 v[0:3], v[0:1], off
	v_and_b32_e32 v7, 15, v6
	v_cmp_eq_u32_e32 vcc, 0, v7
	v_cmp_ne_u32_e64 s[0:1], 0, v7
	v_cmp_lt_u32_e64 s[2:3], 1, v7
	v_cmp_lt_u32_e64 s[4:5], 3, v7
	;; [unrolled: 1-line block ×3, first 2 shown]
	v_add_u32_e32 v7, -1, v6
	v_and_b32_e32 v8, 0x70, v6
	v_cmp_lt_i32_e64 s[8:9], v7, v8
	v_cndmask_b32_e64 v6, v7, v6, s[8:9]
	v_lshlrev_b32_e32 v10, 2, v6
	s_movk_i32 s16, 0x64
	s_branch .LBB81_2
.LBB81_1:                               ;   in Loop: Header=BB81_2 Depth=1
	s_or_b64 exec, exec, s[8:9]
	v_add_f64 v[0:1], s[12:13], v[0:1]
	v_add_f64 v[2:3], s[14:15], v[2:3]
	v_mov_b32_e32 v6, s13
	v_mov_b32_e32 v7, s12
	;; [unrolled: 1-line block ×4, first 2 shown]
	s_add_i32 s16, s16, -1
	s_cmp_lg_u32 s16, 0
	ds_bpermute_b32 v1, v10, v1
	ds_bpermute_b32 v0, v10, v0
	;; [unrolled: 1-line block ×4, first 2 shown]
	s_waitcnt lgkmcnt(3)
	v_cndmask_b32_e32 v1, v1, v6, vcc
	s_waitcnt lgkmcnt(2)
	v_cndmask_b32_e32 v0, v0, v7, vcc
	;; [unrolled: 2-line block ×4, first 2 shown]
	s_cbranch_scc0 .LBB81_10
.LBB81_2:                               ; =>This Inner Loop Header: Depth=1
	s_waitcnt vmcnt(0)
	v_mov_b32_dpp v6, v0 row_shr:1 row_mask:0xf bank_mask:0xf
	v_mov_b32_dpp v7, v1 row_shr:1 row_mask:0xf bank_mask:0xf
	v_mov_b32_dpp v8, v2 row_shr:1 row_mask:0xf bank_mask:0xf
	v_mov_b32_dpp v9, v3 row_shr:1 row_mask:0xf bank_mask:0xf
	s_and_saveexec_b64 s[8:9], s[0:1]
	s_cbranch_execz .LBB81_4
; %bb.3:                                ;   in Loop: Header=BB81_2 Depth=1
	v_add_f64 v[2:3], v[2:3], v[8:9]
	v_add_f64 v[0:1], v[0:1], v[6:7]
.LBB81_4:                               ;   in Loop: Header=BB81_2 Depth=1
	s_or_b64 exec, exec, s[8:9]
	s_nop 0
	v_mov_b32_dpp v6, v0 row_shr:2 row_mask:0xf bank_mask:0xf
	v_mov_b32_dpp v7, v1 row_shr:2 row_mask:0xf bank_mask:0xf
	v_mov_b32_dpp v8, v2 row_shr:2 row_mask:0xf bank_mask:0xf
	v_mov_b32_dpp v9, v3 row_shr:2 row_mask:0xf bank_mask:0xf
	s_and_saveexec_b64 s[8:9], s[2:3]
	s_cbranch_execz .LBB81_6
; %bb.5:                                ;   in Loop: Header=BB81_2 Depth=1
	v_add_f64 v[2:3], v[2:3], v[8:9]
	v_add_f64 v[0:1], v[0:1], v[6:7]
.LBB81_6:                               ;   in Loop: Header=BB81_2 Depth=1
	s_or_b64 exec, exec, s[8:9]
	s_nop 0
	;; [unrolled: 12-line block ×3, first 2 shown]
	v_mov_b32_dpp v6, v0 row_shr:8 row_mask:0xf bank_mask:0xf
	v_mov_b32_dpp v7, v1 row_shr:8 row_mask:0xf bank_mask:0xf
	;; [unrolled: 1-line block ×4, first 2 shown]
	s_and_saveexec_b64 s[8:9], s[6:7]
	s_cbranch_execz .LBB81_1
; %bb.9:                                ;   in Loop: Header=BB81_2 Depth=1
	v_add_f64 v[2:3], v[2:3], v[8:9]
	v_add_f64 v[0:1], v[0:1], v[6:7]
	s_branch .LBB81_1
.LBB81_10:
	v_mov_b32_e32 v6, s11
	v_add_co_u32_e32 v4, vcc, s10, v4
	v_addc_co_u32_e32 v5, vcc, v6, v5, vcc
	global_store_dwordx4 v[4:5], v[0:3], off
	s_endpgm
	.section	.rodata,"a",@progbits
	.p2align	6, 0x0
	.amdhsa_kernel _Z6kernelI14exclusive_scanN15benchmark_utils11custom_typeIddEELj256ELj16ELj100EEvPKT0_PS4_S4_
		.amdhsa_group_segment_fixed_size 0
		.amdhsa_private_segment_fixed_size 0
		.amdhsa_kernarg_size 288
		.amdhsa_user_sgpr_count 6
		.amdhsa_user_sgpr_private_segment_buffer 1
		.amdhsa_user_sgpr_dispatch_ptr 0
		.amdhsa_user_sgpr_queue_ptr 0
		.amdhsa_user_sgpr_kernarg_segment_ptr 1
		.amdhsa_user_sgpr_dispatch_id 0
		.amdhsa_user_sgpr_flat_scratch_init 0
		.amdhsa_user_sgpr_private_segment_size 0
		.amdhsa_uses_dynamic_stack 0
		.amdhsa_system_sgpr_private_segment_wavefront_offset 0
		.amdhsa_system_sgpr_workgroup_id_x 1
		.amdhsa_system_sgpr_workgroup_id_y 0
		.amdhsa_system_sgpr_workgroup_id_z 0
		.amdhsa_system_sgpr_workgroup_info 0
		.amdhsa_system_vgpr_workitem_id 0
		.amdhsa_next_free_vgpr 11
		.amdhsa_next_free_sgpr 17
		.amdhsa_reserve_vcc 1
		.amdhsa_reserve_flat_scratch 0
		.amdhsa_float_round_mode_32 0
		.amdhsa_float_round_mode_16_64 0
		.amdhsa_float_denorm_mode_32 3
		.amdhsa_float_denorm_mode_16_64 3
		.amdhsa_dx10_clamp 1
		.amdhsa_ieee_mode 1
		.amdhsa_fp16_overflow 0
		.amdhsa_exception_fp_ieee_invalid_op 0
		.amdhsa_exception_fp_denorm_src 0
		.amdhsa_exception_fp_ieee_div_zero 0
		.amdhsa_exception_fp_ieee_overflow 0
		.amdhsa_exception_fp_ieee_underflow 0
		.amdhsa_exception_fp_ieee_inexact 0
		.amdhsa_exception_int_div_zero 0
	.end_amdhsa_kernel
	.section	.text._Z6kernelI14exclusive_scanN15benchmark_utils11custom_typeIddEELj256ELj16ELj100EEvPKT0_PS4_S4_,"axG",@progbits,_Z6kernelI14exclusive_scanN15benchmark_utils11custom_typeIddEELj256ELj16ELj100EEvPKT0_PS4_S4_,comdat
.Lfunc_end81:
	.size	_Z6kernelI14exclusive_scanN15benchmark_utils11custom_typeIddEELj256ELj16ELj100EEvPKT0_PS4_S4_, .Lfunc_end81-_Z6kernelI14exclusive_scanN15benchmark_utils11custom_typeIddEELj256ELj16ELj100EEvPKT0_PS4_S4_
                                        ; -- End function
	.set _Z6kernelI14exclusive_scanN15benchmark_utils11custom_typeIddEELj256ELj16ELj100EEvPKT0_PS4_S4_.num_vgpr, 11
	.set _Z6kernelI14exclusive_scanN15benchmark_utils11custom_typeIddEELj256ELj16ELj100EEvPKT0_PS4_S4_.num_agpr, 0
	.set _Z6kernelI14exclusive_scanN15benchmark_utils11custom_typeIddEELj256ELj16ELj100EEvPKT0_PS4_S4_.numbered_sgpr, 17
	.set _Z6kernelI14exclusive_scanN15benchmark_utils11custom_typeIddEELj256ELj16ELj100EEvPKT0_PS4_S4_.num_named_barrier, 0
	.set _Z6kernelI14exclusive_scanN15benchmark_utils11custom_typeIddEELj256ELj16ELj100EEvPKT0_PS4_S4_.private_seg_size, 0
	.set _Z6kernelI14exclusive_scanN15benchmark_utils11custom_typeIddEELj256ELj16ELj100EEvPKT0_PS4_S4_.uses_vcc, 1
	.set _Z6kernelI14exclusive_scanN15benchmark_utils11custom_typeIddEELj256ELj16ELj100EEvPKT0_PS4_S4_.uses_flat_scratch, 0
	.set _Z6kernelI14exclusive_scanN15benchmark_utils11custom_typeIddEELj256ELj16ELj100EEvPKT0_PS4_S4_.has_dyn_sized_stack, 0
	.set _Z6kernelI14exclusive_scanN15benchmark_utils11custom_typeIddEELj256ELj16ELj100EEvPKT0_PS4_S4_.has_recursion, 0
	.set _Z6kernelI14exclusive_scanN15benchmark_utils11custom_typeIddEELj256ELj16ELj100EEvPKT0_PS4_S4_.has_indirect_call, 0
	.section	.AMDGPU.csdata,"",@progbits
; Kernel info:
; codeLenInByte = 556
; TotalNumSgprs: 21
; NumVgprs: 11
; ScratchSize: 0
; MemoryBound: 0
; FloatMode: 240
; IeeeMode: 1
; LDSByteSize: 0 bytes/workgroup (compile time only)
; SGPRBlocks: 2
; VGPRBlocks: 2
; NumSGPRsForWavesPerEU: 21
; NumVGPRsForWavesPerEU: 11
; Occupancy: 10
; WaveLimiterHint : 0
; COMPUTE_PGM_RSRC2:SCRATCH_EN: 0
; COMPUTE_PGM_RSRC2:USER_SGPR: 6
; COMPUTE_PGM_RSRC2:TRAP_HANDLER: 0
; COMPUTE_PGM_RSRC2:TGID_X_EN: 1
; COMPUTE_PGM_RSRC2:TGID_Y_EN: 0
; COMPUTE_PGM_RSRC2:TGID_Z_EN: 0
; COMPUTE_PGM_RSRC2:TIDIG_COMP_CNT: 0
	.section	.text._Z6kernelI14exclusive_scanN15benchmark_utils11custom_typeIddEELj62ELj31ELj100EEvPKT0_PS4_S4_,"axG",@progbits,_Z6kernelI14exclusive_scanN15benchmark_utils11custom_typeIddEELj62ELj31ELj100EEvPKT0_PS4_S4_,comdat
	.protected	_Z6kernelI14exclusive_scanN15benchmark_utils11custom_typeIddEELj62ELj31ELj100EEvPKT0_PS4_S4_ ; -- Begin function _Z6kernelI14exclusive_scanN15benchmark_utils11custom_typeIddEELj62ELj31ELj100EEvPKT0_PS4_S4_
	.globl	_Z6kernelI14exclusive_scanN15benchmark_utils11custom_typeIddEELj62ELj31ELj100EEvPKT0_PS4_S4_
	.p2align	8
	.type	_Z6kernelI14exclusive_scanN15benchmark_utils11custom_typeIddEELj62ELj31ELj100EEvPKT0_PS4_S4_,@function
_Z6kernelI14exclusive_scanN15benchmark_utils11custom_typeIddEELj62ELj31ELj100EEvPKT0_PS4_S4_: ; @_Z6kernelI14exclusive_scanN15benchmark_utils11custom_typeIddEELj62ELj31ELj100EEvPKT0_PS4_S4_
; %bb.0:
	s_load_dword s0, s[4:5], 0x2c
	s_load_dwordx8 s[8:15], s[4:5], 0x0
	v_mov_b32_e32 v1, 0
	v_mbcnt_lo_u32_b32 v6, -1, 0
	v_mbcnt_hi_u32_b32 v6, -1, v6
	s_waitcnt lgkmcnt(0)
	s_and_b32 s0, s0, 0xffff
	s_mul_i32 s6, s6, s0
	v_add_u32_e32 v0, s6, v0
	v_lshlrev_b64 v[4:5], 4, v[0:1]
	v_mov_b32_e32 v1, s9
	v_add_co_u32_e32 v0, vcc, s8, v4
	v_addc_co_u32_e32 v1, vcc, v1, v5, vcc
	global_load_dwordx4 v[0:3], v[0:1], off
	s_mov_b32 s0, 0x8421085
	v_mul_hi_u32 v7, v6, s0
	s_movk_i32 s16, 0x64
	v_mul_u32_u24_e32 v7, 31, v7
	v_sub_u32_e32 v7, v6, v7
	v_lshlrev_b32_e32 v6, 4, v7
	v_cmp_ne_u32_e32 vcc, 0, v7
	v_cmp_lt_u32_e64 s[0:1], 1, v7
	v_cmp_lt_u32_e64 s[2:3], 3, v7
	;; [unrolled: 1-line block ×4, first 2 shown]
	v_add_u32_e32 v7, -16, v6
	v_subrev_u32_e32 v8, 32, v6
	v_subrev_u32_e32 v9, 64, v6
	v_add_u32_e32 v10, 0xffffff80, v6
	v_add_u32_e32 v11, 0xffffff00, v6
	s_branch .LBB82_2
.LBB82_1:                               ;   in Loop: Header=BB82_2 Depth=1
	s_or_b64 exec, exec, s[8:9]
	s_add_i32 s16, s16, -1
	s_cmp_lg_u32 s16, 0
	s_cbranch_scc0 .LBB82_24
.LBB82_2:                               ; =>This Inner Loop Header: Depth=1
	s_waitcnt vmcnt(0)
	ds_write2_b64 v6, v[0:1], v[2:3] offset1:1
	; wave barrier
	s_and_saveexec_b64 s[8:9], vcc
	s_cbranch_execz .LBB82_4
; %bb.3:                                ;   in Loop: Header=BB82_2 Depth=1
	ds_read2_b64 v[12:15], v7 offset1:1
	s_waitcnt lgkmcnt(0)
	v_add_f64 v[0:1], v[0:1], v[12:13]
	v_add_f64 v[2:3], v[2:3], v[14:15]
.LBB82_4:                               ;   in Loop: Header=BB82_2 Depth=1
	s_or_b64 exec, exec, s[8:9]
	; wave barrier
	s_and_saveexec_b64 s[8:9], vcc
; %bb.5:                                ;   in Loop: Header=BB82_2 Depth=1
	ds_write2_b64 v6, v[0:1], v[2:3] offset1:1
; %bb.6:                                ;   in Loop: Header=BB82_2 Depth=1
	s_or_b64 exec, exec, s[8:9]
	; wave barrier
	s_and_saveexec_b64 s[8:9], s[0:1]
	s_cbranch_execz .LBB82_8
; %bb.7:                                ;   in Loop: Header=BB82_2 Depth=1
	ds_read2_b64 v[12:15], v8 offset1:1
	s_waitcnt lgkmcnt(0)
	v_add_f64 v[0:1], v[0:1], v[12:13]
	v_add_f64 v[2:3], v[2:3], v[14:15]
.LBB82_8:                               ;   in Loop: Header=BB82_2 Depth=1
	s_or_b64 exec, exec, s[8:9]
	; wave barrier
	s_and_saveexec_b64 s[8:9], s[0:1]
; %bb.9:                                ;   in Loop: Header=BB82_2 Depth=1
	ds_write2_b64 v6, v[0:1], v[2:3] offset1:1
; %bb.10:                               ;   in Loop: Header=BB82_2 Depth=1
	s_or_b64 exec, exec, s[8:9]
	; wave barrier
	s_and_saveexec_b64 s[8:9], s[2:3]
	s_cbranch_execz .LBB82_12
; %bb.11:                               ;   in Loop: Header=BB82_2 Depth=1
	ds_read2_b64 v[12:15], v9 offset1:1
	s_waitcnt lgkmcnt(0)
	v_add_f64 v[0:1], v[0:1], v[12:13]
	v_add_f64 v[2:3], v[2:3], v[14:15]
.LBB82_12:                              ;   in Loop: Header=BB82_2 Depth=1
	s_or_b64 exec, exec, s[8:9]
	; wave barrier
	s_and_saveexec_b64 s[8:9], s[2:3]
; %bb.13:                               ;   in Loop: Header=BB82_2 Depth=1
	ds_write2_b64 v6, v[0:1], v[2:3] offset1:1
; %bb.14:                               ;   in Loop: Header=BB82_2 Depth=1
	s_or_b64 exec, exec, s[8:9]
	; wave barrier
	s_and_saveexec_b64 s[8:9], s[4:5]
	s_cbranch_execz .LBB82_16
; %bb.15:                               ;   in Loop: Header=BB82_2 Depth=1
	ds_read2_b64 v[12:15], v10 offset1:1
	s_waitcnt lgkmcnt(0)
	v_add_f64 v[0:1], v[0:1], v[12:13]
	v_add_f64 v[2:3], v[2:3], v[14:15]
.LBB82_16:                              ;   in Loop: Header=BB82_2 Depth=1
	s_or_b64 exec, exec, s[8:9]
	; wave barrier
	s_and_saveexec_b64 s[8:9], s[4:5]
; %bb.17:                               ;   in Loop: Header=BB82_2 Depth=1
	;; [unrolled: 16-line block ×3, first 2 shown]
	ds_write2_b64 v6, v[0:1], v[2:3] offset1:1
; %bb.22:                               ;   in Loop: Header=BB82_2 Depth=1
	s_or_b64 exec, exec, s[8:9]
	v_mov_b32_e32 v0, s12
	v_mov_b32_e32 v2, s14
	;; [unrolled: 1-line block ×4, first 2 shown]
	; wave barrier
	s_and_saveexec_b64 s[8:9], vcc
	s_cbranch_execz .LBB82_1
; %bb.23:                               ;   in Loop: Header=BB82_2 Depth=1
	ds_read2_b64 v[0:3], v7 offset1:1
	s_waitcnt lgkmcnt(0)
	v_add_f64 v[0:1], s[12:13], v[0:1]
	v_add_f64 v[2:3], s[14:15], v[2:3]
	s_branch .LBB82_1
.LBB82_24:
	v_mov_b32_e32 v6, s11
	v_add_co_u32_e32 v4, vcc, s10, v4
	v_addc_co_u32_e32 v5, vcc, v6, v5, vcc
	global_store_dwordx4 v[4:5], v[0:3], off
	s_endpgm
	.section	.rodata,"a",@progbits
	.p2align	6, 0x0
	.amdhsa_kernel _Z6kernelI14exclusive_scanN15benchmark_utils11custom_typeIddEELj62ELj31ELj100EEvPKT0_PS4_S4_
		.amdhsa_group_segment_fixed_size 496
		.amdhsa_private_segment_fixed_size 0
		.amdhsa_kernarg_size 288
		.amdhsa_user_sgpr_count 6
		.amdhsa_user_sgpr_private_segment_buffer 1
		.amdhsa_user_sgpr_dispatch_ptr 0
		.amdhsa_user_sgpr_queue_ptr 0
		.amdhsa_user_sgpr_kernarg_segment_ptr 1
		.amdhsa_user_sgpr_dispatch_id 0
		.amdhsa_user_sgpr_flat_scratch_init 0
		.amdhsa_user_sgpr_private_segment_size 0
		.amdhsa_uses_dynamic_stack 0
		.amdhsa_system_sgpr_private_segment_wavefront_offset 0
		.amdhsa_system_sgpr_workgroup_id_x 1
		.amdhsa_system_sgpr_workgroup_id_y 0
		.amdhsa_system_sgpr_workgroup_id_z 0
		.amdhsa_system_sgpr_workgroup_info 0
		.amdhsa_system_vgpr_workitem_id 0
		.amdhsa_next_free_vgpr 16
		.amdhsa_next_free_sgpr 17
		.amdhsa_reserve_vcc 1
		.amdhsa_reserve_flat_scratch 0
		.amdhsa_float_round_mode_32 0
		.amdhsa_float_round_mode_16_64 0
		.amdhsa_float_denorm_mode_32 3
		.amdhsa_float_denorm_mode_16_64 3
		.amdhsa_dx10_clamp 1
		.amdhsa_ieee_mode 1
		.amdhsa_fp16_overflow 0
		.amdhsa_exception_fp_ieee_invalid_op 0
		.amdhsa_exception_fp_denorm_src 0
		.amdhsa_exception_fp_ieee_div_zero 0
		.amdhsa_exception_fp_ieee_overflow 0
		.amdhsa_exception_fp_ieee_underflow 0
		.amdhsa_exception_fp_ieee_inexact 0
		.amdhsa_exception_int_div_zero 0
	.end_amdhsa_kernel
	.section	.text._Z6kernelI14exclusive_scanN15benchmark_utils11custom_typeIddEELj62ELj31ELj100EEvPKT0_PS4_S4_,"axG",@progbits,_Z6kernelI14exclusive_scanN15benchmark_utils11custom_typeIddEELj62ELj31ELj100EEvPKT0_PS4_S4_,comdat
.Lfunc_end82:
	.size	_Z6kernelI14exclusive_scanN15benchmark_utils11custom_typeIddEELj62ELj31ELj100EEvPKT0_PS4_S4_, .Lfunc_end82-_Z6kernelI14exclusive_scanN15benchmark_utils11custom_typeIddEELj62ELj31ELj100EEvPKT0_PS4_S4_
                                        ; -- End function
	.set _Z6kernelI14exclusive_scanN15benchmark_utils11custom_typeIddEELj62ELj31ELj100EEvPKT0_PS4_S4_.num_vgpr, 16
	.set _Z6kernelI14exclusive_scanN15benchmark_utils11custom_typeIddEELj62ELj31ELj100EEvPKT0_PS4_S4_.num_agpr, 0
	.set _Z6kernelI14exclusive_scanN15benchmark_utils11custom_typeIddEELj62ELj31ELj100EEvPKT0_PS4_S4_.numbered_sgpr, 17
	.set _Z6kernelI14exclusive_scanN15benchmark_utils11custom_typeIddEELj62ELj31ELj100EEvPKT0_PS4_S4_.num_named_barrier, 0
	.set _Z6kernelI14exclusive_scanN15benchmark_utils11custom_typeIddEELj62ELj31ELj100EEvPKT0_PS4_S4_.private_seg_size, 0
	.set _Z6kernelI14exclusive_scanN15benchmark_utils11custom_typeIddEELj62ELj31ELj100EEvPKT0_PS4_S4_.uses_vcc, 1
	.set _Z6kernelI14exclusive_scanN15benchmark_utils11custom_typeIddEELj62ELj31ELj100EEvPKT0_PS4_S4_.uses_flat_scratch, 0
	.set _Z6kernelI14exclusive_scanN15benchmark_utils11custom_typeIddEELj62ELj31ELj100EEvPKT0_PS4_S4_.has_dyn_sized_stack, 0
	.set _Z6kernelI14exclusive_scanN15benchmark_utils11custom_typeIddEELj62ELj31ELj100EEvPKT0_PS4_S4_.has_recursion, 0
	.set _Z6kernelI14exclusive_scanN15benchmark_utils11custom_typeIddEELj62ELj31ELj100EEvPKT0_PS4_S4_.has_indirect_call, 0
	.section	.AMDGPU.csdata,"",@progbits
; Kernel info:
; codeLenInByte = 572
; TotalNumSgprs: 21
; NumVgprs: 16
; ScratchSize: 0
; MemoryBound: 0
; FloatMode: 240
; IeeeMode: 1
; LDSByteSize: 496 bytes/workgroup (compile time only)
; SGPRBlocks: 2
; VGPRBlocks: 3
; NumSGPRsForWavesPerEU: 21
; NumVGPRsForWavesPerEU: 16
; Occupancy: 10
; WaveLimiterHint : 0
; COMPUTE_PGM_RSRC2:SCRATCH_EN: 0
; COMPUTE_PGM_RSRC2:USER_SGPR: 6
; COMPUTE_PGM_RSRC2:TRAP_HANDLER: 0
; COMPUTE_PGM_RSRC2:TGID_X_EN: 1
; COMPUTE_PGM_RSRC2:TGID_Y_EN: 0
; COMPUTE_PGM_RSRC2:TGID_Z_EN: 0
; COMPUTE_PGM_RSRC2:TIDIG_COMP_CNT: 0
	.section	.text._Z6kernelI14exclusive_scanN15benchmark_utils11custom_typeIddEELj256ELj32ELj100EEvPKT0_PS4_S4_,"axG",@progbits,_Z6kernelI14exclusive_scanN15benchmark_utils11custom_typeIddEELj256ELj32ELj100EEvPKT0_PS4_S4_,comdat
	.protected	_Z6kernelI14exclusive_scanN15benchmark_utils11custom_typeIddEELj256ELj32ELj100EEvPKT0_PS4_S4_ ; -- Begin function _Z6kernelI14exclusive_scanN15benchmark_utils11custom_typeIddEELj256ELj32ELj100EEvPKT0_PS4_S4_
	.globl	_Z6kernelI14exclusive_scanN15benchmark_utils11custom_typeIddEELj256ELj32ELj100EEvPKT0_PS4_S4_
	.p2align	8
	.type	_Z6kernelI14exclusive_scanN15benchmark_utils11custom_typeIddEELj256ELj32ELj100EEvPKT0_PS4_S4_,@function
_Z6kernelI14exclusive_scanN15benchmark_utils11custom_typeIddEELj256ELj32ELj100EEvPKT0_PS4_S4_: ; @_Z6kernelI14exclusive_scanN15benchmark_utils11custom_typeIddEELj256ELj32ELj100EEvPKT0_PS4_S4_
; %bb.0:
	s_load_dword s0, s[4:5], 0x2c
	s_load_dwordx8 s[8:15], s[4:5], 0x0
	v_mov_b32_e32 v1, 0
	v_mbcnt_lo_u32_b32 v6, -1, 0
	v_mbcnt_hi_u32_b32 v6, -1, v6
	s_waitcnt lgkmcnt(0)
	s_and_b32 s0, s0, 0xffff
	s_mul_i32 s6, s6, s0
	v_add_u32_e32 v0, s6, v0
	v_lshlrev_b64 v[4:5], 4, v[0:1]
	v_mov_b32_e32 v1, s9
	v_add_co_u32_e32 v0, vcc, s8, v4
	v_addc_co_u32_e32 v1, vcc, v1, v5, vcc
	global_load_dwordx4 v[0:3], v[0:1], off
	v_and_b32_e32 v7, 15, v6
	v_cmp_ne_u32_e32 vcc, 0, v7
	v_cmp_lt_u32_e64 s[0:1], 1, v7
	v_cmp_lt_u32_e64 s[2:3], 3, v7
	;; [unrolled: 1-line block ×3, first 2 shown]
	v_and_b32_e32 v7, 16, v6
	v_cmp_ne_u32_e64 s[6:7], 0, v7
	v_add_u32_e32 v7, -1, v6
	v_and_b32_e32 v8, 0x60, v6
	v_cmp_lt_i32_e64 s[8:9], v7, v8
	v_cndmask_b32_e64 v7, v7, v6, s[8:9]
	v_and_b32_e32 v6, 31, v6
	v_lshlrev_b32_e32 v10, 2, v7
	v_cmp_eq_u32_e64 s[8:9], 0, v6
	s_movk_i32 s18, 0x64
	s_branch .LBB83_2
.LBB83_1:                               ;   in Loop: Header=BB83_2 Depth=1
	s_or_b64 exec, exec, s[16:17]
	v_add_f64 v[0:1], s[12:13], v[0:1]
	v_add_f64 v[2:3], s[14:15], v[2:3]
	v_mov_b32_e32 v6, s13
	v_mov_b32_e32 v7, s12
	;; [unrolled: 1-line block ×4, first 2 shown]
	s_add_i32 s18, s18, -1
	s_cmp_lg_u32 s18, 0
	ds_bpermute_b32 v1, v10, v1
	ds_bpermute_b32 v0, v10, v0
	;; [unrolled: 1-line block ×4, first 2 shown]
	s_waitcnt lgkmcnt(3)
	v_cndmask_b32_e64 v1, v1, v6, s[8:9]
	s_waitcnt lgkmcnt(2)
	v_cndmask_b32_e64 v0, v0, v7, s[8:9]
	s_waitcnt lgkmcnt(1)
	v_cndmask_b32_e64 v3, v3, v8, s[8:9]
	s_waitcnt lgkmcnt(0)
	v_cndmask_b32_e64 v2, v2, v9, s[8:9]
	s_cbranch_scc0 .LBB83_12
.LBB83_2:                               ; =>This Inner Loop Header: Depth=1
	s_waitcnt vmcnt(0)
	v_mov_b32_dpp v6, v0 row_shr:1 row_mask:0xf bank_mask:0xf
	v_mov_b32_dpp v7, v1 row_shr:1 row_mask:0xf bank_mask:0xf
	;; [unrolled: 1-line block ×4, first 2 shown]
	s_and_saveexec_b64 s[16:17], vcc
	s_cbranch_execz .LBB83_4
; %bb.3:                                ;   in Loop: Header=BB83_2 Depth=1
	v_add_f64 v[2:3], v[2:3], v[8:9]
	v_add_f64 v[0:1], v[0:1], v[6:7]
.LBB83_4:                               ;   in Loop: Header=BB83_2 Depth=1
	s_or_b64 exec, exec, s[16:17]
	s_nop 0
	v_mov_b32_dpp v6, v0 row_shr:2 row_mask:0xf bank_mask:0xf
	v_mov_b32_dpp v7, v1 row_shr:2 row_mask:0xf bank_mask:0xf
	v_mov_b32_dpp v8, v2 row_shr:2 row_mask:0xf bank_mask:0xf
	v_mov_b32_dpp v9, v3 row_shr:2 row_mask:0xf bank_mask:0xf
	s_and_saveexec_b64 s[16:17], s[0:1]
	s_cbranch_execz .LBB83_6
; %bb.5:                                ;   in Loop: Header=BB83_2 Depth=1
	v_add_f64 v[2:3], v[2:3], v[8:9]
	v_add_f64 v[0:1], v[0:1], v[6:7]
.LBB83_6:                               ;   in Loop: Header=BB83_2 Depth=1
	s_or_b64 exec, exec, s[16:17]
	s_nop 0
	v_mov_b32_dpp v6, v0 row_shr:4 row_mask:0xf bank_mask:0xf
	v_mov_b32_dpp v7, v1 row_shr:4 row_mask:0xf bank_mask:0xf
	v_mov_b32_dpp v8, v2 row_shr:4 row_mask:0xf bank_mask:0xf
	v_mov_b32_dpp v9, v3 row_shr:4 row_mask:0xf bank_mask:0xf
	s_and_saveexec_b64 s[16:17], s[2:3]
	;; [unrolled: 12-line block ×3, first 2 shown]
	s_cbranch_execz .LBB83_10
; %bb.9:                                ;   in Loop: Header=BB83_2 Depth=1
	v_add_f64 v[2:3], v[2:3], v[8:9]
	v_add_f64 v[0:1], v[0:1], v[6:7]
.LBB83_10:                              ;   in Loop: Header=BB83_2 Depth=1
	s_or_b64 exec, exec, s[16:17]
	s_nop 0
	v_mov_b32_dpp v6, v0 row_bcast:15 row_mask:0xf bank_mask:0xf
	v_mov_b32_dpp v7, v1 row_bcast:15 row_mask:0xf bank_mask:0xf
	;; [unrolled: 1-line block ×4, first 2 shown]
	s_and_saveexec_b64 s[16:17], s[6:7]
	s_cbranch_execz .LBB83_1
; %bb.11:                               ;   in Loop: Header=BB83_2 Depth=1
	v_add_f64 v[2:3], v[2:3], v[8:9]
	v_add_f64 v[0:1], v[0:1], v[6:7]
	s_branch .LBB83_1
.LBB83_12:
	v_mov_b32_e32 v6, s11
	v_add_co_u32_e32 v4, vcc, s10, v4
	v_addc_co_u32_e32 v5, vcc, v6, v5, vcc
	global_store_dwordx4 v[4:5], v[0:3], off
	s_endpgm
	.section	.rodata,"a",@progbits
	.p2align	6, 0x0
	.amdhsa_kernel _Z6kernelI14exclusive_scanN15benchmark_utils11custom_typeIddEELj256ELj32ELj100EEvPKT0_PS4_S4_
		.amdhsa_group_segment_fixed_size 0
		.amdhsa_private_segment_fixed_size 0
		.amdhsa_kernarg_size 288
		.amdhsa_user_sgpr_count 6
		.amdhsa_user_sgpr_private_segment_buffer 1
		.amdhsa_user_sgpr_dispatch_ptr 0
		.amdhsa_user_sgpr_queue_ptr 0
		.amdhsa_user_sgpr_kernarg_segment_ptr 1
		.amdhsa_user_sgpr_dispatch_id 0
		.amdhsa_user_sgpr_flat_scratch_init 0
		.amdhsa_user_sgpr_private_segment_size 0
		.amdhsa_uses_dynamic_stack 0
		.amdhsa_system_sgpr_private_segment_wavefront_offset 0
		.amdhsa_system_sgpr_workgroup_id_x 1
		.amdhsa_system_sgpr_workgroup_id_y 0
		.amdhsa_system_sgpr_workgroup_id_z 0
		.amdhsa_system_sgpr_workgroup_info 0
		.amdhsa_system_vgpr_workitem_id 0
		.amdhsa_next_free_vgpr 11
		.amdhsa_next_free_sgpr 19
		.amdhsa_reserve_vcc 1
		.amdhsa_reserve_flat_scratch 0
		.amdhsa_float_round_mode_32 0
		.amdhsa_float_round_mode_16_64 0
		.amdhsa_float_denorm_mode_32 3
		.amdhsa_float_denorm_mode_16_64 3
		.amdhsa_dx10_clamp 1
		.amdhsa_ieee_mode 1
		.amdhsa_fp16_overflow 0
		.amdhsa_exception_fp_ieee_invalid_op 0
		.amdhsa_exception_fp_denorm_src 0
		.amdhsa_exception_fp_ieee_div_zero 0
		.amdhsa_exception_fp_ieee_overflow 0
		.amdhsa_exception_fp_ieee_underflow 0
		.amdhsa_exception_fp_ieee_inexact 0
		.amdhsa_exception_int_div_zero 0
	.end_amdhsa_kernel
	.section	.text._Z6kernelI14exclusive_scanN15benchmark_utils11custom_typeIddEELj256ELj32ELj100EEvPKT0_PS4_S4_,"axG",@progbits,_Z6kernelI14exclusive_scanN15benchmark_utils11custom_typeIddEELj256ELj32ELj100EEvPKT0_PS4_S4_,comdat
.Lfunc_end83:
	.size	_Z6kernelI14exclusive_scanN15benchmark_utils11custom_typeIddEELj256ELj32ELj100EEvPKT0_PS4_S4_, .Lfunc_end83-_Z6kernelI14exclusive_scanN15benchmark_utils11custom_typeIddEELj256ELj32ELj100EEvPKT0_PS4_S4_
                                        ; -- End function
	.set _Z6kernelI14exclusive_scanN15benchmark_utils11custom_typeIddEELj256ELj32ELj100EEvPKT0_PS4_S4_.num_vgpr, 11
	.set _Z6kernelI14exclusive_scanN15benchmark_utils11custom_typeIddEELj256ELj32ELj100EEvPKT0_PS4_S4_.num_agpr, 0
	.set _Z6kernelI14exclusive_scanN15benchmark_utils11custom_typeIddEELj256ELj32ELj100EEvPKT0_PS4_S4_.numbered_sgpr, 19
	.set _Z6kernelI14exclusive_scanN15benchmark_utils11custom_typeIddEELj256ELj32ELj100EEvPKT0_PS4_S4_.num_named_barrier, 0
	.set _Z6kernelI14exclusive_scanN15benchmark_utils11custom_typeIddEELj256ELj32ELj100EEvPKT0_PS4_S4_.private_seg_size, 0
	.set _Z6kernelI14exclusive_scanN15benchmark_utils11custom_typeIddEELj256ELj32ELj100EEvPKT0_PS4_S4_.uses_vcc, 1
	.set _Z6kernelI14exclusive_scanN15benchmark_utils11custom_typeIddEELj256ELj32ELj100EEvPKT0_PS4_S4_.uses_flat_scratch, 0
	.set _Z6kernelI14exclusive_scanN15benchmark_utils11custom_typeIddEELj256ELj32ELj100EEvPKT0_PS4_S4_.has_dyn_sized_stack, 0
	.set _Z6kernelI14exclusive_scanN15benchmark_utils11custom_typeIddEELj256ELj32ELj100EEvPKT0_PS4_S4_.has_recursion, 0
	.set _Z6kernelI14exclusive_scanN15benchmark_utils11custom_typeIddEELj256ELj32ELj100EEvPKT0_PS4_S4_.has_indirect_call, 0
	.section	.AMDGPU.csdata,"",@progbits
; Kernel info:
; codeLenInByte = 652
; TotalNumSgprs: 23
; NumVgprs: 11
; ScratchSize: 0
; MemoryBound: 0
; FloatMode: 240
; IeeeMode: 1
; LDSByteSize: 0 bytes/workgroup (compile time only)
; SGPRBlocks: 2
; VGPRBlocks: 2
; NumSGPRsForWavesPerEU: 23
; NumVGPRsForWavesPerEU: 11
; Occupancy: 10
; WaveLimiterHint : 0
; COMPUTE_PGM_RSRC2:SCRATCH_EN: 0
; COMPUTE_PGM_RSRC2:USER_SGPR: 6
; COMPUTE_PGM_RSRC2:TRAP_HANDLER: 0
; COMPUTE_PGM_RSRC2:TGID_X_EN: 1
; COMPUTE_PGM_RSRC2:TGID_Y_EN: 0
; COMPUTE_PGM_RSRC2:TGID_Z_EN: 0
; COMPUTE_PGM_RSRC2:TIDIG_COMP_CNT: 0
	.section	.text._Z6kernelI14exclusive_scanN15benchmark_utils11custom_typeIddEELj63ELj63ELj100EEvPKT0_PS4_S4_,"axG",@progbits,_Z6kernelI14exclusive_scanN15benchmark_utils11custom_typeIddEELj63ELj63ELj100EEvPKT0_PS4_S4_,comdat
	.protected	_Z6kernelI14exclusive_scanN15benchmark_utils11custom_typeIddEELj63ELj63ELj100EEvPKT0_PS4_S4_ ; -- Begin function _Z6kernelI14exclusive_scanN15benchmark_utils11custom_typeIddEELj63ELj63ELj100EEvPKT0_PS4_S4_
	.globl	_Z6kernelI14exclusive_scanN15benchmark_utils11custom_typeIddEELj63ELj63ELj100EEvPKT0_PS4_S4_
	.p2align	8
	.type	_Z6kernelI14exclusive_scanN15benchmark_utils11custom_typeIddEELj63ELj63ELj100EEvPKT0_PS4_S4_,@function
_Z6kernelI14exclusive_scanN15benchmark_utils11custom_typeIddEELj63ELj63ELj100EEvPKT0_PS4_S4_: ; @_Z6kernelI14exclusive_scanN15benchmark_utils11custom_typeIddEELj63ELj63ELj100EEvPKT0_PS4_S4_
; %bb.0:
	s_load_dword s0, s[4:5], 0x2c
	s_load_dwordx8 s[8:15], s[4:5], 0x0
	v_mov_b32_e32 v1, 0
	v_mbcnt_lo_u32_b32 v6, -1, 0
	v_mbcnt_hi_u32_b32 v6, -1, v6
	s_waitcnt lgkmcnt(0)
	s_and_b32 s0, s0, 0xffff
	s_mul_i32 s6, s6, s0
	v_add_u32_e32 v0, s6, v0
	v_lshlrev_b64 v[4:5], 4, v[0:1]
	v_mov_b32_e32 v1, s9
	v_add_co_u32_e32 v0, vcc, s8, v4
	v_addc_co_u32_e32 v1, vcc, v1, v5, vcc
	global_load_dwordx4 v[0:3], v[0:1], off
	s_mov_b32 s0, 0x4104105
	v_mul_hi_u32 v7, v6, s0
	s_movk_i32 s18, 0x64
	v_mul_u32_u24_e32 v7, 63, v7
	v_sub_u32_e32 v7, v6, v7
	v_lshlrev_b32_e32 v6, 4, v7
	v_cmp_ne_u32_e32 vcc, 0, v7
	v_cmp_lt_u32_e64 s[0:1], 1, v7
	v_cmp_lt_u32_e64 s[2:3], 3, v7
	;; [unrolled: 1-line block ×5, first 2 shown]
	v_add_u32_e32 v7, -16, v6
	v_subrev_u32_e32 v8, 32, v6
	v_subrev_u32_e32 v9, 64, v6
	v_add_u32_e32 v10, 0xffffff80, v6
	v_add_u32_e32 v11, 0xffffff00, v6
	;; [unrolled: 1-line block ×3, first 2 shown]
	s_branch .LBB84_2
.LBB84_1:                               ;   in Loop: Header=BB84_2 Depth=1
	s_or_b64 exec, exec, s[16:17]
	s_add_i32 s18, s18, -1
	s_cmp_lg_u32 s18, 0
	s_cbranch_scc0 .LBB84_28
.LBB84_2:                               ; =>This Inner Loop Header: Depth=1
	s_waitcnt vmcnt(0)
	ds_write2_b64 v6, v[0:1], v[2:3] offset1:1
	; wave barrier
	s_and_saveexec_b64 s[16:17], vcc
	s_cbranch_execz .LBB84_4
; %bb.3:                                ;   in Loop: Header=BB84_2 Depth=1
	ds_read2_b64 v[13:16], v7 offset1:1
	s_waitcnt lgkmcnt(0)
	v_add_f64 v[0:1], v[0:1], v[13:14]
	v_add_f64 v[2:3], v[2:3], v[15:16]
.LBB84_4:                               ;   in Loop: Header=BB84_2 Depth=1
	s_or_b64 exec, exec, s[16:17]
	; wave barrier
	s_and_saveexec_b64 s[16:17], vcc
; %bb.5:                                ;   in Loop: Header=BB84_2 Depth=1
	ds_write2_b64 v6, v[0:1], v[2:3] offset1:1
; %bb.6:                                ;   in Loop: Header=BB84_2 Depth=1
	s_or_b64 exec, exec, s[16:17]
	; wave barrier
	s_and_saveexec_b64 s[16:17], s[0:1]
	s_cbranch_execz .LBB84_8
; %bb.7:                                ;   in Loop: Header=BB84_2 Depth=1
	ds_read2_b64 v[13:16], v8 offset1:1
	s_waitcnt lgkmcnt(0)
	v_add_f64 v[0:1], v[0:1], v[13:14]
	v_add_f64 v[2:3], v[2:3], v[15:16]
.LBB84_8:                               ;   in Loop: Header=BB84_2 Depth=1
	s_or_b64 exec, exec, s[16:17]
	; wave barrier
	s_and_saveexec_b64 s[16:17], s[0:1]
; %bb.9:                                ;   in Loop: Header=BB84_2 Depth=1
	ds_write2_b64 v6, v[0:1], v[2:3] offset1:1
; %bb.10:                               ;   in Loop: Header=BB84_2 Depth=1
	s_or_b64 exec, exec, s[16:17]
	; wave barrier
	s_and_saveexec_b64 s[16:17], s[2:3]
	s_cbranch_execz .LBB84_12
; %bb.11:                               ;   in Loop: Header=BB84_2 Depth=1
	ds_read2_b64 v[13:16], v9 offset1:1
	s_waitcnt lgkmcnt(0)
	v_add_f64 v[0:1], v[0:1], v[13:14]
	v_add_f64 v[2:3], v[2:3], v[15:16]
.LBB84_12:                              ;   in Loop: Header=BB84_2 Depth=1
	s_or_b64 exec, exec, s[16:17]
	; wave barrier
	s_and_saveexec_b64 s[16:17], s[2:3]
; %bb.13:                               ;   in Loop: Header=BB84_2 Depth=1
	ds_write2_b64 v6, v[0:1], v[2:3] offset1:1
; %bb.14:                               ;   in Loop: Header=BB84_2 Depth=1
	s_or_b64 exec, exec, s[16:17]
	; wave barrier
	s_and_saveexec_b64 s[16:17], s[4:5]
	s_cbranch_execz .LBB84_16
; %bb.15:                               ;   in Loop: Header=BB84_2 Depth=1
	ds_read2_b64 v[13:16], v10 offset1:1
	s_waitcnt lgkmcnt(0)
	v_add_f64 v[0:1], v[0:1], v[13:14]
	v_add_f64 v[2:3], v[2:3], v[15:16]
.LBB84_16:                              ;   in Loop: Header=BB84_2 Depth=1
	s_or_b64 exec, exec, s[16:17]
	; wave barrier
	s_and_saveexec_b64 s[16:17], s[4:5]
; %bb.17:                               ;   in Loop: Header=BB84_2 Depth=1
	;; [unrolled: 16-line block ×4, first 2 shown]
	ds_write2_b64 v6, v[0:1], v[2:3] offset1:1
; %bb.26:                               ;   in Loop: Header=BB84_2 Depth=1
	s_or_b64 exec, exec, s[16:17]
	v_mov_b32_e32 v0, s12
	v_mov_b32_e32 v2, s14
	;; [unrolled: 1-line block ×4, first 2 shown]
	; wave barrier
	s_and_saveexec_b64 s[16:17], vcc
	s_cbranch_execz .LBB84_1
; %bb.27:                               ;   in Loop: Header=BB84_2 Depth=1
	ds_read2_b64 v[0:3], v7 offset1:1
	s_waitcnt lgkmcnt(0)
	v_add_f64 v[0:1], s[12:13], v[0:1]
	v_add_f64 v[2:3], s[14:15], v[2:3]
	s_branch .LBB84_1
.LBB84_28:
	v_mov_b32_e32 v6, s11
	v_add_co_u32_e32 v4, vcc, s10, v4
	v_addc_co_u32_e32 v5, vcc, v6, v5, vcc
	global_store_dwordx4 v[4:5], v[0:3], off
	s_endpgm
	.section	.rodata,"a",@progbits
	.p2align	6, 0x0
	.amdhsa_kernel _Z6kernelI14exclusive_scanN15benchmark_utils11custom_typeIddEELj63ELj63ELj100EEvPKT0_PS4_S4_
		.amdhsa_group_segment_fixed_size 1008
		.amdhsa_private_segment_fixed_size 0
		.amdhsa_kernarg_size 288
		.amdhsa_user_sgpr_count 6
		.amdhsa_user_sgpr_private_segment_buffer 1
		.amdhsa_user_sgpr_dispatch_ptr 0
		.amdhsa_user_sgpr_queue_ptr 0
		.amdhsa_user_sgpr_kernarg_segment_ptr 1
		.amdhsa_user_sgpr_dispatch_id 0
		.amdhsa_user_sgpr_flat_scratch_init 0
		.amdhsa_user_sgpr_private_segment_size 0
		.amdhsa_uses_dynamic_stack 0
		.amdhsa_system_sgpr_private_segment_wavefront_offset 0
		.amdhsa_system_sgpr_workgroup_id_x 1
		.amdhsa_system_sgpr_workgroup_id_y 0
		.amdhsa_system_sgpr_workgroup_id_z 0
		.amdhsa_system_sgpr_workgroup_info 0
		.amdhsa_system_vgpr_workitem_id 0
		.amdhsa_next_free_vgpr 17
		.amdhsa_next_free_sgpr 19
		.amdhsa_reserve_vcc 1
		.amdhsa_reserve_flat_scratch 0
		.amdhsa_float_round_mode_32 0
		.amdhsa_float_round_mode_16_64 0
		.amdhsa_float_denorm_mode_32 3
		.amdhsa_float_denorm_mode_16_64 3
		.amdhsa_dx10_clamp 1
		.amdhsa_ieee_mode 1
		.amdhsa_fp16_overflow 0
		.amdhsa_exception_fp_ieee_invalid_op 0
		.amdhsa_exception_fp_denorm_src 0
		.amdhsa_exception_fp_ieee_div_zero 0
		.amdhsa_exception_fp_ieee_overflow 0
		.amdhsa_exception_fp_ieee_underflow 0
		.amdhsa_exception_fp_ieee_inexact 0
		.amdhsa_exception_int_div_zero 0
	.end_amdhsa_kernel
	.section	.text._Z6kernelI14exclusive_scanN15benchmark_utils11custom_typeIddEELj63ELj63ELj100EEvPKT0_PS4_S4_,"axG",@progbits,_Z6kernelI14exclusive_scanN15benchmark_utils11custom_typeIddEELj63ELj63ELj100EEvPKT0_PS4_S4_,comdat
.Lfunc_end84:
	.size	_Z6kernelI14exclusive_scanN15benchmark_utils11custom_typeIddEELj63ELj63ELj100EEvPKT0_PS4_S4_, .Lfunc_end84-_Z6kernelI14exclusive_scanN15benchmark_utils11custom_typeIddEELj63ELj63ELj100EEvPKT0_PS4_S4_
                                        ; -- End function
	.set _Z6kernelI14exclusive_scanN15benchmark_utils11custom_typeIddEELj63ELj63ELj100EEvPKT0_PS4_S4_.num_vgpr, 17
	.set _Z6kernelI14exclusive_scanN15benchmark_utils11custom_typeIddEELj63ELj63ELj100EEvPKT0_PS4_S4_.num_agpr, 0
	.set _Z6kernelI14exclusive_scanN15benchmark_utils11custom_typeIddEELj63ELj63ELj100EEvPKT0_PS4_S4_.numbered_sgpr, 19
	.set _Z6kernelI14exclusive_scanN15benchmark_utils11custom_typeIddEELj63ELj63ELj100EEvPKT0_PS4_S4_.num_named_barrier, 0
	.set _Z6kernelI14exclusive_scanN15benchmark_utils11custom_typeIddEELj63ELj63ELj100EEvPKT0_PS4_S4_.private_seg_size, 0
	.set _Z6kernelI14exclusive_scanN15benchmark_utils11custom_typeIddEELj63ELj63ELj100EEvPKT0_PS4_S4_.uses_vcc, 1
	.set _Z6kernelI14exclusive_scanN15benchmark_utils11custom_typeIddEELj63ELj63ELj100EEvPKT0_PS4_S4_.uses_flat_scratch, 0
	.set _Z6kernelI14exclusive_scanN15benchmark_utils11custom_typeIddEELj63ELj63ELj100EEvPKT0_PS4_S4_.has_dyn_sized_stack, 0
	.set _Z6kernelI14exclusive_scanN15benchmark_utils11custom_typeIddEELj63ELj63ELj100EEvPKT0_PS4_S4_.has_recursion, 0
	.set _Z6kernelI14exclusive_scanN15benchmark_utils11custom_typeIddEELj63ELj63ELj100EEvPKT0_PS4_S4_.has_indirect_call, 0
	.section	.AMDGPU.csdata,"",@progbits
; Kernel info:
; codeLenInByte = 644
; TotalNumSgprs: 23
; NumVgprs: 17
; ScratchSize: 0
; MemoryBound: 0
; FloatMode: 240
; IeeeMode: 1
; LDSByteSize: 1008 bytes/workgroup (compile time only)
; SGPRBlocks: 2
; VGPRBlocks: 4
; NumSGPRsForWavesPerEU: 23
; NumVGPRsForWavesPerEU: 17
; Occupancy: 10
; WaveLimiterHint : 0
; COMPUTE_PGM_RSRC2:SCRATCH_EN: 0
; COMPUTE_PGM_RSRC2:USER_SGPR: 6
; COMPUTE_PGM_RSRC2:TRAP_HANDLER: 0
; COMPUTE_PGM_RSRC2:TGID_X_EN: 1
; COMPUTE_PGM_RSRC2:TGID_Y_EN: 0
; COMPUTE_PGM_RSRC2:TGID_Z_EN: 0
; COMPUTE_PGM_RSRC2:TIDIG_COMP_CNT: 0
	.section	.text._Z6kernelI14exclusive_scanN15benchmark_utils11custom_typeIddEELj64ELj64ELj100EEvPKT0_PS4_S4_,"axG",@progbits,_Z6kernelI14exclusive_scanN15benchmark_utils11custom_typeIddEELj64ELj64ELj100EEvPKT0_PS4_S4_,comdat
	.protected	_Z6kernelI14exclusive_scanN15benchmark_utils11custom_typeIddEELj64ELj64ELj100EEvPKT0_PS4_S4_ ; -- Begin function _Z6kernelI14exclusive_scanN15benchmark_utils11custom_typeIddEELj64ELj64ELj100EEvPKT0_PS4_S4_
	.globl	_Z6kernelI14exclusive_scanN15benchmark_utils11custom_typeIddEELj64ELj64ELj100EEvPKT0_PS4_S4_
	.p2align	8
	.type	_Z6kernelI14exclusive_scanN15benchmark_utils11custom_typeIddEELj64ELj64ELj100EEvPKT0_PS4_S4_,@function
_Z6kernelI14exclusive_scanN15benchmark_utils11custom_typeIddEELj64ELj64ELj100EEvPKT0_PS4_S4_: ; @_Z6kernelI14exclusive_scanN15benchmark_utils11custom_typeIddEELj64ELj64ELj100EEvPKT0_PS4_S4_
; %bb.0:
	s_load_dword s0, s[4:5], 0x2c
	s_load_dwordx8 s[12:19], s[4:5], 0x0
	v_mov_b32_e32 v1, 0
	v_mbcnt_lo_u32_b32 v6, -1, 0
	v_mbcnt_hi_u32_b32 v6, -1, v6
	s_waitcnt lgkmcnt(0)
	s_and_b32 s0, s0, 0xffff
	s_mul_i32 s6, s6, s0
	v_add_u32_e32 v0, s6, v0
	v_lshlrev_b64 v[4:5], 4, v[0:1]
	v_mov_b32_e32 v1, s13
	v_add_co_u32_e32 v0, vcc, s12, v4
	v_addc_co_u32_e32 v1, vcc, v1, v5, vcc
	global_load_dwordx4 v[0:3], v[0:1], off
	v_and_b32_e32 v7, 15, v6
	v_cmp_ne_u32_e32 vcc, 0, v7
	v_cmp_lt_u32_e64 s[0:1], 1, v7
	v_cmp_lt_u32_e64 s[2:3], 3, v7
	;; [unrolled: 1-line block ×3, first 2 shown]
	v_and_b32_e32 v7, 16, v6
	v_cmp_ne_u32_e64 s[6:7], 0, v7
	v_subrev_co_u32_e64 v7, s[10:11], 1, v6
	v_and_b32_e32 v8, 64, v6
	v_cmp_lt_i32_e64 s[12:13], v7, v8
	v_cmp_lt_u32_e64 s[8:9], 31, v6
	v_cndmask_b32_e64 v6, v7, v6, s[12:13]
	v_lshlrev_b32_e32 v10, 2, v6
	s_movk_i32 s20, 0x64
	s_branch .LBB85_2
.LBB85_1:                               ;   in Loop: Header=BB85_2 Depth=1
	s_or_b64 exec, exec, s[12:13]
	v_add_f64 v[0:1], s[16:17], v[0:1]
	v_add_f64 v[2:3], s[18:19], v[2:3]
	v_mov_b32_e32 v6, s17
	v_mov_b32_e32 v7, s16
	;; [unrolled: 1-line block ×4, first 2 shown]
	s_add_i32 s20, s20, -1
	s_cmp_lg_u32 s20, 0
	ds_bpermute_b32 v1, v10, v1
	ds_bpermute_b32 v0, v10, v0
	;; [unrolled: 1-line block ×4, first 2 shown]
	s_waitcnt lgkmcnt(3)
	v_cndmask_b32_e64 v1, v1, v6, s[10:11]
	s_waitcnt lgkmcnt(2)
	v_cndmask_b32_e64 v0, v0, v7, s[10:11]
	;; [unrolled: 2-line block ×4, first 2 shown]
	s_cbranch_scc0 .LBB85_14
.LBB85_2:                               ; =>This Inner Loop Header: Depth=1
	s_waitcnt vmcnt(0)
	v_mov_b32_dpp v6, v0 row_shr:1 row_mask:0xf bank_mask:0xf
	v_mov_b32_dpp v7, v1 row_shr:1 row_mask:0xf bank_mask:0xf
	v_mov_b32_dpp v8, v2 row_shr:1 row_mask:0xf bank_mask:0xf
	v_mov_b32_dpp v9, v3 row_shr:1 row_mask:0xf bank_mask:0xf
	s_and_saveexec_b64 s[12:13], vcc
	s_cbranch_execz .LBB85_4
; %bb.3:                                ;   in Loop: Header=BB85_2 Depth=1
	v_add_f64 v[2:3], v[2:3], v[8:9]
	v_add_f64 v[0:1], v[0:1], v[6:7]
.LBB85_4:                               ;   in Loop: Header=BB85_2 Depth=1
	s_or_b64 exec, exec, s[12:13]
	s_nop 0
	v_mov_b32_dpp v6, v0 row_shr:2 row_mask:0xf bank_mask:0xf
	v_mov_b32_dpp v7, v1 row_shr:2 row_mask:0xf bank_mask:0xf
	v_mov_b32_dpp v8, v2 row_shr:2 row_mask:0xf bank_mask:0xf
	v_mov_b32_dpp v9, v3 row_shr:2 row_mask:0xf bank_mask:0xf
	s_and_saveexec_b64 s[12:13], s[0:1]
	s_cbranch_execz .LBB85_6
; %bb.5:                                ;   in Loop: Header=BB85_2 Depth=1
	v_add_f64 v[2:3], v[2:3], v[8:9]
	v_add_f64 v[0:1], v[0:1], v[6:7]
.LBB85_6:                               ;   in Loop: Header=BB85_2 Depth=1
	s_or_b64 exec, exec, s[12:13]
	s_nop 0
	v_mov_b32_dpp v6, v0 row_shr:4 row_mask:0xf bank_mask:0xf
	v_mov_b32_dpp v7, v1 row_shr:4 row_mask:0xf bank_mask:0xf
	v_mov_b32_dpp v8, v2 row_shr:4 row_mask:0xf bank_mask:0xf
	v_mov_b32_dpp v9, v3 row_shr:4 row_mask:0xf bank_mask:0xf
	s_and_saveexec_b64 s[12:13], s[2:3]
	;; [unrolled: 12-line block ×3, first 2 shown]
	s_cbranch_execz .LBB85_10
; %bb.9:                                ;   in Loop: Header=BB85_2 Depth=1
	v_add_f64 v[2:3], v[2:3], v[8:9]
	v_add_f64 v[0:1], v[0:1], v[6:7]
.LBB85_10:                              ;   in Loop: Header=BB85_2 Depth=1
	s_or_b64 exec, exec, s[12:13]
	s_nop 0
	v_mov_b32_dpp v6, v0 row_bcast:15 row_mask:0xf bank_mask:0xf
	v_mov_b32_dpp v7, v1 row_bcast:15 row_mask:0xf bank_mask:0xf
	;; [unrolled: 1-line block ×4, first 2 shown]
	s_and_saveexec_b64 s[12:13], s[6:7]
	s_cbranch_execz .LBB85_12
; %bb.11:                               ;   in Loop: Header=BB85_2 Depth=1
	v_add_f64 v[2:3], v[2:3], v[8:9]
	v_add_f64 v[0:1], v[0:1], v[6:7]
.LBB85_12:                              ;   in Loop: Header=BB85_2 Depth=1
	s_or_b64 exec, exec, s[12:13]
	s_nop 0
	v_mov_b32_dpp v6, v0 row_bcast:31 row_mask:0xf bank_mask:0xf
	v_mov_b32_dpp v7, v1 row_bcast:31 row_mask:0xf bank_mask:0xf
	;; [unrolled: 1-line block ×4, first 2 shown]
	s_and_saveexec_b64 s[12:13], s[8:9]
	s_cbranch_execz .LBB85_1
; %bb.13:                               ;   in Loop: Header=BB85_2 Depth=1
	v_add_f64 v[2:3], v[2:3], v[8:9]
	v_add_f64 v[0:1], v[0:1], v[6:7]
	s_branch .LBB85_1
.LBB85_14:
	v_mov_b32_e32 v6, s15
	v_add_co_u32_e32 v4, vcc, s14, v4
	v_addc_co_u32_e32 v5, vcc, v6, v5, vcc
	global_store_dwordx4 v[4:5], v[0:3], off
	s_endpgm
	.section	.rodata,"a",@progbits
	.p2align	6, 0x0
	.amdhsa_kernel _Z6kernelI14exclusive_scanN15benchmark_utils11custom_typeIddEELj64ELj64ELj100EEvPKT0_PS4_S4_
		.amdhsa_group_segment_fixed_size 0
		.amdhsa_private_segment_fixed_size 0
		.amdhsa_kernarg_size 288
		.amdhsa_user_sgpr_count 6
		.amdhsa_user_sgpr_private_segment_buffer 1
		.amdhsa_user_sgpr_dispatch_ptr 0
		.amdhsa_user_sgpr_queue_ptr 0
		.amdhsa_user_sgpr_kernarg_segment_ptr 1
		.amdhsa_user_sgpr_dispatch_id 0
		.amdhsa_user_sgpr_flat_scratch_init 0
		.amdhsa_user_sgpr_private_segment_size 0
		.amdhsa_uses_dynamic_stack 0
		.amdhsa_system_sgpr_private_segment_wavefront_offset 0
		.amdhsa_system_sgpr_workgroup_id_x 1
		.amdhsa_system_sgpr_workgroup_id_y 0
		.amdhsa_system_sgpr_workgroup_id_z 0
		.amdhsa_system_sgpr_workgroup_info 0
		.amdhsa_system_vgpr_workitem_id 0
		.amdhsa_next_free_vgpr 11
		.amdhsa_next_free_sgpr 21
		.amdhsa_reserve_vcc 1
		.amdhsa_reserve_flat_scratch 0
		.amdhsa_float_round_mode_32 0
		.amdhsa_float_round_mode_16_64 0
		.amdhsa_float_denorm_mode_32 3
		.amdhsa_float_denorm_mode_16_64 3
		.amdhsa_dx10_clamp 1
		.amdhsa_ieee_mode 1
		.amdhsa_fp16_overflow 0
		.amdhsa_exception_fp_ieee_invalid_op 0
		.amdhsa_exception_fp_denorm_src 0
		.amdhsa_exception_fp_ieee_div_zero 0
		.amdhsa_exception_fp_ieee_overflow 0
		.amdhsa_exception_fp_ieee_underflow 0
		.amdhsa_exception_fp_ieee_inexact 0
		.amdhsa_exception_int_div_zero 0
	.end_amdhsa_kernel
	.section	.text._Z6kernelI14exclusive_scanN15benchmark_utils11custom_typeIddEELj64ELj64ELj100EEvPKT0_PS4_S4_,"axG",@progbits,_Z6kernelI14exclusive_scanN15benchmark_utils11custom_typeIddEELj64ELj64ELj100EEvPKT0_PS4_S4_,comdat
.Lfunc_end85:
	.size	_Z6kernelI14exclusive_scanN15benchmark_utils11custom_typeIddEELj64ELj64ELj100EEvPKT0_PS4_S4_, .Lfunc_end85-_Z6kernelI14exclusive_scanN15benchmark_utils11custom_typeIddEELj64ELj64ELj100EEvPKT0_PS4_S4_
                                        ; -- End function
	.set _Z6kernelI14exclusive_scanN15benchmark_utils11custom_typeIddEELj64ELj64ELj100EEvPKT0_PS4_S4_.num_vgpr, 11
	.set _Z6kernelI14exclusive_scanN15benchmark_utils11custom_typeIddEELj64ELj64ELj100EEvPKT0_PS4_S4_.num_agpr, 0
	.set _Z6kernelI14exclusive_scanN15benchmark_utils11custom_typeIddEELj64ELj64ELj100EEvPKT0_PS4_S4_.numbered_sgpr, 21
	.set _Z6kernelI14exclusive_scanN15benchmark_utils11custom_typeIddEELj64ELj64ELj100EEvPKT0_PS4_S4_.num_named_barrier, 0
	.set _Z6kernelI14exclusive_scanN15benchmark_utils11custom_typeIddEELj64ELj64ELj100EEvPKT0_PS4_S4_.private_seg_size, 0
	.set _Z6kernelI14exclusive_scanN15benchmark_utils11custom_typeIddEELj64ELj64ELj100EEvPKT0_PS4_S4_.uses_vcc, 1
	.set _Z6kernelI14exclusive_scanN15benchmark_utils11custom_typeIddEELj64ELj64ELj100EEvPKT0_PS4_S4_.uses_flat_scratch, 0
	.set _Z6kernelI14exclusive_scanN15benchmark_utils11custom_typeIddEELj64ELj64ELj100EEvPKT0_PS4_S4_.has_dyn_sized_stack, 0
	.set _Z6kernelI14exclusive_scanN15benchmark_utils11custom_typeIddEELj64ELj64ELj100EEvPKT0_PS4_S4_.has_recursion, 0
	.set _Z6kernelI14exclusive_scanN15benchmark_utils11custom_typeIddEELj64ELj64ELj100EEvPKT0_PS4_S4_.has_indirect_call, 0
	.section	.AMDGPU.csdata,"",@progbits
; Kernel info:
; codeLenInByte = 712
; TotalNumSgprs: 25
; NumVgprs: 11
; ScratchSize: 0
; MemoryBound: 0
; FloatMode: 240
; IeeeMode: 1
; LDSByteSize: 0 bytes/workgroup (compile time only)
; SGPRBlocks: 3
; VGPRBlocks: 2
; NumSGPRsForWavesPerEU: 25
; NumVGPRsForWavesPerEU: 11
; Occupancy: 10
; WaveLimiterHint : 0
; COMPUTE_PGM_RSRC2:SCRATCH_EN: 0
; COMPUTE_PGM_RSRC2:USER_SGPR: 6
; COMPUTE_PGM_RSRC2:TRAP_HANDLER: 0
; COMPUTE_PGM_RSRC2:TGID_X_EN: 1
; COMPUTE_PGM_RSRC2:TGID_Y_EN: 0
; COMPUTE_PGM_RSRC2:TGID_Z_EN: 0
; COMPUTE_PGM_RSRC2:TIDIG_COMP_CNT: 0
	.section	.text._Z6kernelI14exclusive_scanN15benchmark_utils11custom_typeIddEELj128ELj64ELj100EEvPKT0_PS4_S4_,"axG",@progbits,_Z6kernelI14exclusive_scanN15benchmark_utils11custom_typeIddEELj128ELj64ELj100EEvPKT0_PS4_S4_,comdat
	.protected	_Z6kernelI14exclusive_scanN15benchmark_utils11custom_typeIddEELj128ELj64ELj100EEvPKT0_PS4_S4_ ; -- Begin function _Z6kernelI14exclusive_scanN15benchmark_utils11custom_typeIddEELj128ELj64ELj100EEvPKT0_PS4_S4_
	.globl	_Z6kernelI14exclusive_scanN15benchmark_utils11custom_typeIddEELj128ELj64ELj100EEvPKT0_PS4_S4_
	.p2align	8
	.type	_Z6kernelI14exclusive_scanN15benchmark_utils11custom_typeIddEELj128ELj64ELj100EEvPKT0_PS4_S4_,@function
_Z6kernelI14exclusive_scanN15benchmark_utils11custom_typeIddEELj128ELj64ELj100EEvPKT0_PS4_S4_: ; @_Z6kernelI14exclusive_scanN15benchmark_utils11custom_typeIddEELj128ELj64ELj100EEvPKT0_PS4_S4_
; %bb.0:
	s_load_dword s0, s[4:5], 0x2c
	s_load_dwordx8 s[12:19], s[4:5], 0x0
	v_mov_b32_e32 v1, 0
	v_mbcnt_lo_u32_b32 v6, -1, 0
	v_mbcnt_hi_u32_b32 v6, -1, v6
	s_waitcnt lgkmcnt(0)
	s_and_b32 s0, s0, 0xffff
	s_mul_i32 s6, s6, s0
	v_add_u32_e32 v0, s6, v0
	v_lshlrev_b64 v[4:5], 4, v[0:1]
	v_mov_b32_e32 v1, s13
	v_add_co_u32_e32 v0, vcc, s12, v4
	v_addc_co_u32_e32 v1, vcc, v1, v5, vcc
	global_load_dwordx4 v[0:3], v[0:1], off
	v_and_b32_e32 v7, 15, v6
	v_cmp_ne_u32_e32 vcc, 0, v7
	v_cmp_lt_u32_e64 s[0:1], 1, v7
	v_cmp_lt_u32_e64 s[2:3], 3, v7
	;; [unrolled: 1-line block ×3, first 2 shown]
	v_and_b32_e32 v7, 16, v6
	v_cmp_ne_u32_e64 s[6:7], 0, v7
	v_subrev_co_u32_e64 v7, s[10:11], 1, v6
	v_and_b32_e32 v8, 64, v6
	v_cmp_lt_i32_e64 s[12:13], v7, v8
	v_cmp_lt_u32_e64 s[8:9], 31, v6
	v_cndmask_b32_e64 v6, v7, v6, s[12:13]
	v_lshlrev_b32_e32 v10, 2, v6
	s_movk_i32 s20, 0x64
	s_branch .LBB86_2
.LBB86_1:                               ;   in Loop: Header=BB86_2 Depth=1
	s_or_b64 exec, exec, s[12:13]
	v_add_f64 v[0:1], s[16:17], v[0:1]
	v_add_f64 v[2:3], s[18:19], v[2:3]
	v_mov_b32_e32 v6, s17
	v_mov_b32_e32 v7, s16
	;; [unrolled: 1-line block ×4, first 2 shown]
	s_add_i32 s20, s20, -1
	s_cmp_lg_u32 s20, 0
	ds_bpermute_b32 v1, v10, v1
	ds_bpermute_b32 v0, v10, v0
	;; [unrolled: 1-line block ×4, first 2 shown]
	s_waitcnt lgkmcnt(3)
	v_cndmask_b32_e64 v1, v1, v6, s[10:11]
	s_waitcnt lgkmcnt(2)
	v_cndmask_b32_e64 v0, v0, v7, s[10:11]
	;; [unrolled: 2-line block ×4, first 2 shown]
	s_cbranch_scc0 .LBB86_14
.LBB86_2:                               ; =>This Inner Loop Header: Depth=1
	s_waitcnt vmcnt(0)
	v_mov_b32_dpp v6, v0 row_shr:1 row_mask:0xf bank_mask:0xf
	v_mov_b32_dpp v7, v1 row_shr:1 row_mask:0xf bank_mask:0xf
	;; [unrolled: 1-line block ×4, first 2 shown]
	s_and_saveexec_b64 s[12:13], vcc
	s_cbranch_execz .LBB86_4
; %bb.3:                                ;   in Loop: Header=BB86_2 Depth=1
	v_add_f64 v[2:3], v[2:3], v[8:9]
	v_add_f64 v[0:1], v[0:1], v[6:7]
.LBB86_4:                               ;   in Loop: Header=BB86_2 Depth=1
	s_or_b64 exec, exec, s[12:13]
	s_nop 0
	v_mov_b32_dpp v6, v0 row_shr:2 row_mask:0xf bank_mask:0xf
	v_mov_b32_dpp v7, v1 row_shr:2 row_mask:0xf bank_mask:0xf
	v_mov_b32_dpp v8, v2 row_shr:2 row_mask:0xf bank_mask:0xf
	v_mov_b32_dpp v9, v3 row_shr:2 row_mask:0xf bank_mask:0xf
	s_and_saveexec_b64 s[12:13], s[0:1]
	s_cbranch_execz .LBB86_6
; %bb.5:                                ;   in Loop: Header=BB86_2 Depth=1
	v_add_f64 v[2:3], v[2:3], v[8:9]
	v_add_f64 v[0:1], v[0:1], v[6:7]
.LBB86_6:                               ;   in Loop: Header=BB86_2 Depth=1
	s_or_b64 exec, exec, s[12:13]
	s_nop 0
	v_mov_b32_dpp v6, v0 row_shr:4 row_mask:0xf bank_mask:0xf
	v_mov_b32_dpp v7, v1 row_shr:4 row_mask:0xf bank_mask:0xf
	v_mov_b32_dpp v8, v2 row_shr:4 row_mask:0xf bank_mask:0xf
	v_mov_b32_dpp v9, v3 row_shr:4 row_mask:0xf bank_mask:0xf
	s_and_saveexec_b64 s[12:13], s[2:3]
	;; [unrolled: 12-line block ×3, first 2 shown]
	s_cbranch_execz .LBB86_10
; %bb.9:                                ;   in Loop: Header=BB86_2 Depth=1
	v_add_f64 v[2:3], v[2:3], v[8:9]
	v_add_f64 v[0:1], v[0:1], v[6:7]
.LBB86_10:                              ;   in Loop: Header=BB86_2 Depth=1
	s_or_b64 exec, exec, s[12:13]
	s_nop 0
	v_mov_b32_dpp v6, v0 row_bcast:15 row_mask:0xf bank_mask:0xf
	v_mov_b32_dpp v7, v1 row_bcast:15 row_mask:0xf bank_mask:0xf
	;; [unrolled: 1-line block ×4, first 2 shown]
	s_and_saveexec_b64 s[12:13], s[6:7]
	s_cbranch_execz .LBB86_12
; %bb.11:                               ;   in Loop: Header=BB86_2 Depth=1
	v_add_f64 v[2:3], v[2:3], v[8:9]
	v_add_f64 v[0:1], v[0:1], v[6:7]
.LBB86_12:                              ;   in Loop: Header=BB86_2 Depth=1
	s_or_b64 exec, exec, s[12:13]
	s_nop 0
	v_mov_b32_dpp v6, v0 row_bcast:31 row_mask:0xf bank_mask:0xf
	v_mov_b32_dpp v7, v1 row_bcast:31 row_mask:0xf bank_mask:0xf
	;; [unrolled: 1-line block ×4, first 2 shown]
	s_and_saveexec_b64 s[12:13], s[8:9]
	s_cbranch_execz .LBB86_1
; %bb.13:                               ;   in Loop: Header=BB86_2 Depth=1
	v_add_f64 v[2:3], v[2:3], v[8:9]
	v_add_f64 v[0:1], v[0:1], v[6:7]
	s_branch .LBB86_1
.LBB86_14:
	v_mov_b32_e32 v6, s15
	v_add_co_u32_e32 v4, vcc, s14, v4
	v_addc_co_u32_e32 v5, vcc, v6, v5, vcc
	global_store_dwordx4 v[4:5], v[0:3], off
	s_endpgm
	.section	.rodata,"a",@progbits
	.p2align	6, 0x0
	.amdhsa_kernel _Z6kernelI14exclusive_scanN15benchmark_utils11custom_typeIddEELj128ELj64ELj100EEvPKT0_PS4_S4_
		.amdhsa_group_segment_fixed_size 0
		.amdhsa_private_segment_fixed_size 0
		.amdhsa_kernarg_size 288
		.amdhsa_user_sgpr_count 6
		.amdhsa_user_sgpr_private_segment_buffer 1
		.amdhsa_user_sgpr_dispatch_ptr 0
		.amdhsa_user_sgpr_queue_ptr 0
		.amdhsa_user_sgpr_kernarg_segment_ptr 1
		.amdhsa_user_sgpr_dispatch_id 0
		.amdhsa_user_sgpr_flat_scratch_init 0
		.amdhsa_user_sgpr_private_segment_size 0
		.amdhsa_uses_dynamic_stack 0
		.amdhsa_system_sgpr_private_segment_wavefront_offset 0
		.amdhsa_system_sgpr_workgroup_id_x 1
		.amdhsa_system_sgpr_workgroup_id_y 0
		.amdhsa_system_sgpr_workgroup_id_z 0
		.amdhsa_system_sgpr_workgroup_info 0
		.amdhsa_system_vgpr_workitem_id 0
		.amdhsa_next_free_vgpr 11
		.amdhsa_next_free_sgpr 21
		.amdhsa_reserve_vcc 1
		.amdhsa_reserve_flat_scratch 0
		.amdhsa_float_round_mode_32 0
		.amdhsa_float_round_mode_16_64 0
		.amdhsa_float_denorm_mode_32 3
		.amdhsa_float_denorm_mode_16_64 3
		.amdhsa_dx10_clamp 1
		.amdhsa_ieee_mode 1
		.amdhsa_fp16_overflow 0
		.amdhsa_exception_fp_ieee_invalid_op 0
		.amdhsa_exception_fp_denorm_src 0
		.amdhsa_exception_fp_ieee_div_zero 0
		.amdhsa_exception_fp_ieee_overflow 0
		.amdhsa_exception_fp_ieee_underflow 0
		.amdhsa_exception_fp_ieee_inexact 0
		.amdhsa_exception_int_div_zero 0
	.end_amdhsa_kernel
	.section	.text._Z6kernelI14exclusive_scanN15benchmark_utils11custom_typeIddEELj128ELj64ELj100EEvPKT0_PS4_S4_,"axG",@progbits,_Z6kernelI14exclusive_scanN15benchmark_utils11custom_typeIddEELj128ELj64ELj100EEvPKT0_PS4_S4_,comdat
.Lfunc_end86:
	.size	_Z6kernelI14exclusive_scanN15benchmark_utils11custom_typeIddEELj128ELj64ELj100EEvPKT0_PS4_S4_, .Lfunc_end86-_Z6kernelI14exclusive_scanN15benchmark_utils11custom_typeIddEELj128ELj64ELj100EEvPKT0_PS4_S4_
                                        ; -- End function
	.set _Z6kernelI14exclusive_scanN15benchmark_utils11custom_typeIddEELj128ELj64ELj100EEvPKT0_PS4_S4_.num_vgpr, 11
	.set _Z6kernelI14exclusive_scanN15benchmark_utils11custom_typeIddEELj128ELj64ELj100EEvPKT0_PS4_S4_.num_agpr, 0
	.set _Z6kernelI14exclusive_scanN15benchmark_utils11custom_typeIddEELj128ELj64ELj100EEvPKT0_PS4_S4_.numbered_sgpr, 21
	.set _Z6kernelI14exclusive_scanN15benchmark_utils11custom_typeIddEELj128ELj64ELj100EEvPKT0_PS4_S4_.num_named_barrier, 0
	.set _Z6kernelI14exclusive_scanN15benchmark_utils11custom_typeIddEELj128ELj64ELj100EEvPKT0_PS4_S4_.private_seg_size, 0
	.set _Z6kernelI14exclusive_scanN15benchmark_utils11custom_typeIddEELj128ELj64ELj100EEvPKT0_PS4_S4_.uses_vcc, 1
	.set _Z6kernelI14exclusive_scanN15benchmark_utils11custom_typeIddEELj128ELj64ELj100EEvPKT0_PS4_S4_.uses_flat_scratch, 0
	.set _Z6kernelI14exclusive_scanN15benchmark_utils11custom_typeIddEELj128ELj64ELj100EEvPKT0_PS4_S4_.has_dyn_sized_stack, 0
	.set _Z6kernelI14exclusive_scanN15benchmark_utils11custom_typeIddEELj128ELj64ELj100EEvPKT0_PS4_S4_.has_recursion, 0
	.set _Z6kernelI14exclusive_scanN15benchmark_utils11custom_typeIddEELj128ELj64ELj100EEvPKT0_PS4_S4_.has_indirect_call, 0
	.section	.AMDGPU.csdata,"",@progbits
; Kernel info:
; codeLenInByte = 712
; TotalNumSgprs: 25
; NumVgprs: 11
; ScratchSize: 0
; MemoryBound: 0
; FloatMode: 240
; IeeeMode: 1
; LDSByteSize: 0 bytes/workgroup (compile time only)
; SGPRBlocks: 3
; VGPRBlocks: 2
; NumSGPRsForWavesPerEU: 25
; NumVGPRsForWavesPerEU: 11
; Occupancy: 10
; WaveLimiterHint : 0
; COMPUTE_PGM_RSRC2:SCRATCH_EN: 0
; COMPUTE_PGM_RSRC2:USER_SGPR: 6
; COMPUTE_PGM_RSRC2:TRAP_HANDLER: 0
; COMPUTE_PGM_RSRC2:TGID_X_EN: 1
; COMPUTE_PGM_RSRC2:TGID_Y_EN: 0
; COMPUTE_PGM_RSRC2:TGID_Z_EN: 0
; COMPUTE_PGM_RSRC2:TIDIG_COMP_CNT: 0
	.section	.text._Z6kernelI14exclusive_scanN15benchmark_utils11custom_typeIddEELj256ELj64ELj100EEvPKT0_PS4_S4_,"axG",@progbits,_Z6kernelI14exclusive_scanN15benchmark_utils11custom_typeIddEELj256ELj64ELj100EEvPKT0_PS4_S4_,comdat
	.protected	_Z6kernelI14exclusive_scanN15benchmark_utils11custom_typeIddEELj256ELj64ELj100EEvPKT0_PS4_S4_ ; -- Begin function _Z6kernelI14exclusive_scanN15benchmark_utils11custom_typeIddEELj256ELj64ELj100EEvPKT0_PS4_S4_
	.globl	_Z6kernelI14exclusive_scanN15benchmark_utils11custom_typeIddEELj256ELj64ELj100EEvPKT0_PS4_S4_
	.p2align	8
	.type	_Z6kernelI14exclusive_scanN15benchmark_utils11custom_typeIddEELj256ELj64ELj100EEvPKT0_PS4_S4_,@function
_Z6kernelI14exclusive_scanN15benchmark_utils11custom_typeIddEELj256ELj64ELj100EEvPKT0_PS4_S4_: ; @_Z6kernelI14exclusive_scanN15benchmark_utils11custom_typeIddEELj256ELj64ELj100EEvPKT0_PS4_S4_
; %bb.0:
	s_load_dword s0, s[4:5], 0x2c
	s_load_dwordx8 s[12:19], s[4:5], 0x0
	v_mov_b32_e32 v1, 0
	v_mbcnt_lo_u32_b32 v6, -1, 0
	v_mbcnt_hi_u32_b32 v6, -1, v6
	s_waitcnt lgkmcnt(0)
	s_and_b32 s0, s0, 0xffff
	s_mul_i32 s6, s6, s0
	v_add_u32_e32 v0, s6, v0
	v_lshlrev_b64 v[4:5], 4, v[0:1]
	v_mov_b32_e32 v1, s13
	v_add_co_u32_e32 v0, vcc, s12, v4
	v_addc_co_u32_e32 v1, vcc, v1, v5, vcc
	global_load_dwordx4 v[0:3], v[0:1], off
	v_and_b32_e32 v7, 15, v6
	v_cmp_ne_u32_e32 vcc, 0, v7
	v_cmp_lt_u32_e64 s[0:1], 1, v7
	v_cmp_lt_u32_e64 s[2:3], 3, v7
	;; [unrolled: 1-line block ×3, first 2 shown]
	v_and_b32_e32 v7, 16, v6
	v_cmp_ne_u32_e64 s[6:7], 0, v7
	v_subrev_co_u32_e64 v7, s[10:11], 1, v6
	v_and_b32_e32 v8, 64, v6
	v_cmp_lt_i32_e64 s[12:13], v7, v8
	v_cmp_lt_u32_e64 s[8:9], 31, v6
	v_cndmask_b32_e64 v6, v7, v6, s[12:13]
	v_lshlrev_b32_e32 v10, 2, v6
	s_movk_i32 s20, 0x64
	s_branch .LBB87_2
.LBB87_1:                               ;   in Loop: Header=BB87_2 Depth=1
	s_or_b64 exec, exec, s[12:13]
	v_add_f64 v[0:1], s[16:17], v[0:1]
	v_add_f64 v[2:3], s[18:19], v[2:3]
	v_mov_b32_e32 v6, s17
	v_mov_b32_e32 v7, s16
	;; [unrolled: 1-line block ×4, first 2 shown]
	s_add_i32 s20, s20, -1
	s_cmp_lg_u32 s20, 0
	ds_bpermute_b32 v1, v10, v1
	ds_bpermute_b32 v0, v10, v0
	;; [unrolled: 1-line block ×4, first 2 shown]
	s_waitcnt lgkmcnt(3)
	v_cndmask_b32_e64 v1, v1, v6, s[10:11]
	s_waitcnt lgkmcnt(2)
	v_cndmask_b32_e64 v0, v0, v7, s[10:11]
	;; [unrolled: 2-line block ×4, first 2 shown]
	s_cbranch_scc0 .LBB87_14
.LBB87_2:                               ; =>This Inner Loop Header: Depth=1
	s_waitcnt vmcnt(0)
	v_mov_b32_dpp v6, v0 row_shr:1 row_mask:0xf bank_mask:0xf
	v_mov_b32_dpp v7, v1 row_shr:1 row_mask:0xf bank_mask:0xf
	;; [unrolled: 1-line block ×4, first 2 shown]
	s_and_saveexec_b64 s[12:13], vcc
	s_cbranch_execz .LBB87_4
; %bb.3:                                ;   in Loop: Header=BB87_2 Depth=1
	v_add_f64 v[2:3], v[2:3], v[8:9]
	v_add_f64 v[0:1], v[0:1], v[6:7]
.LBB87_4:                               ;   in Loop: Header=BB87_2 Depth=1
	s_or_b64 exec, exec, s[12:13]
	s_nop 0
	v_mov_b32_dpp v6, v0 row_shr:2 row_mask:0xf bank_mask:0xf
	v_mov_b32_dpp v7, v1 row_shr:2 row_mask:0xf bank_mask:0xf
	v_mov_b32_dpp v8, v2 row_shr:2 row_mask:0xf bank_mask:0xf
	v_mov_b32_dpp v9, v3 row_shr:2 row_mask:0xf bank_mask:0xf
	s_and_saveexec_b64 s[12:13], s[0:1]
	s_cbranch_execz .LBB87_6
; %bb.5:                                ;   in Loop: Header=BB87_2 Depth=1
	v_add_f64 v[2:3], v[2:3], v[8:9]
	v_add_f64 v[0:1], v[0:1], v[6:7]
.LBB87_6:                               ;   in Loop: Header=BB87_2 Depth=1
	s_or_b64 exec, exec, s[12:13]
	s_nop 0
	v_mov_b32_dpp v6, v0 row_shr:4 row_mask:0xf bank_mask:0xf
	v_mov_b32_dpp v7, v1 row_shr:4 row_mask:0xf bank_mask:0xf
	v_mov_b32_dpp v8, v2 row_shr:4 row_mask:0xf bank_mask:0xf
	v_mov_b32_dpp v9, v3 row_shr:4 row_mask:0xf bank_mask:0xf
	s_and_saveexec_b64 s[12:13], s[2:3]
	;; [unrolled: 12-line block ×3, first 2 shown]
	s_cbranch_execz .LBB87_10
; %bb.9:                                ;   in Loop: Header=BB87_2 Depth=1
	v_add_f64 v[2:3], v[2:3], v[8:9]
	v_add_f64 v[0:1], v[0:1], v[6:7]
.LBB87_10:                              ;   in Loop: Header=BB87_2 Depth=1
	s_or_b64 exec, exec, s[12:13]
	s_nop 0
	v_mov_b32_dpp v6, v0 row_bcast:15 row_mask:0xf bank_mask:0xf
	v_mov_b32_dpp v7, v1 row_bcast:15 row_mask:0xf bank_mask:0xf
	;; [unrolled: 1-line block ×4, first 2 shown]
	s_and_saveexec_b64 s[12:13], s[6:7]
	s_cbranch_execz .LBB87_12
; %bb.11:                               ;   in Loop: Header=BB87_2 Depth=1
	v_add_f64 v[2:3], v[2:3], v[8:9]
	v_add_f64 v[0:1], v[0:1], v[6:7]
.LBB87_12:                              ;   in Loop: Header=BB87_2 Depth=1
	s_or_b64 exec, exec, s[12:13]
	s_nop 0
	v_mov_b32_dpp v6, v0 row_bcast:31 row_mask:0xf bank_mask:0xf
	v_mov_b32_dpp v7, v1 row_bcast:31 row_mask:0xf bank_mask:0xf
	;; [unrolled: 1-line block ×4, first 2 shown]
	s_and_saveexec_b64 s[12:13], s[8:9]
	s_cbranch_execz .LBB87_1
; %bb.13:                               ;   in Loop: Header=BB87_2 Depth=1
	v_add_f64 v[2:3], v[2:3], v[8:9]
	v_add_f64 v[0:1], v[0:1], v[6:7]
	s_branch .LBB87_1
.LBB87_14:
	v_mov_b32_e32 v6, s15
	v_add_co_u32_e32 v4, vcc, s14, v4
	v_addc_co_u32_e32 v5, vcc, v6, v5, vcc
	global_store_dwordx4 v[4:5], v[0:3], off
	s_endpgm
	.section	.rodata,"a",@progbits
	.p2align	6, 0x0
	.amdhsa_kernel _Z6kernelI14exclusive_scanN15benchmark_utils11custom_typeIddEELj256ELj64ELj100EEvPKT0_PS4_S4_
		.amdhsa_group_segment_fixed_size 0
		.amdhsa_private_segment_fixed_size 0
		.amdhsa_kernarg_size 288
		.amdhsa_user_sgpr_count 6
		.amdhsa_user_sgpr_private_segment_buffer 1
		.amdhsa_user_sgpr_dispatch_ptr 0
		.amdhsa_user_sgpr_queue_ptr 0
		.amdhsa_user_sgpr_kernarg_segment_ptr 1
		.amdhsa_user_sgpr_dispatch_id 0
		.amdhsa_user_sgpr_flat_scratch_init 0
		.amdhsa_user_sgpr_private_segment_size 0
		.amdhsa_uses_dynamic_stack 0
		.amdhsa_system_sgpr_private_segment_wavefront_offset 0
		.amdhsa_system_sgpr_workgroup_id_x 1
		.amdhsa_system_sgpr_workgroup_id_y 0
		.amdhsa_system_sgpr_workgroup_id_z 0
		.amdhsa_system_sgpr_workgroup_info 0
		.amdhsa_system_vgpr_workitem_id 0
		.amdhsa_next_free_vgpr 11
		.amdhsa_next_free_sgpr 21
		.amdhsa_reserve_vcc 1
		.amdhsa_reserve_flat_scratch 0
		.amdhsa_float_round_mode_32 0
		.amdhsa_float_round_mode_16_64 0
		.amdhsa_float_denorm_mode_32 3
		.amdhsa_float_denorm_mode_16_64 3
		.amdhsa_dx10_clamp 1
		.amdhsa_ieee_mode 1
		.amdhsa_fp16_overflow 0
		.amdhsa_exception_fp_ieee_invalid_op 0
		.amdhsa_exception_fp_denorm_src 0
		.amdhsa_exception_fp_ieee_div_zero 0
		.amdhsa_exception_fp_ieee_overflow 0
		.amdhsa_exception_fp_ieee_underflow 0
		.amdhsa_exception_fp_ieee_inexact 0
		.amdhsa_exception_int_div_zero 0
	.end_amdhsa_kernel
	.section	.text._Z6kernelI14exclusive_scanN15benchmark_utils11custom_typeIddEELj256ELj64ELj100EEvPKT0_PS4_S4_,"axG",@progbits,_Z6kernelI14exclusive_scanN15benchmark_utils11custom_typeIddEELj256ELj64ELj100EEvPKT0_PS4_S4_,comdat
.Lfunc_end87:
	.size	_Z6kernelI14exclusive_scanN15benchmark_utils11custom_typeIddEELj256ELj64ELj100EEvPKT0_PS4_S4_, .Lfunc_end87-_Z6kernelI14exclusive_scanN15benchmark_utils11custom_typeIddEELj256ELj64ELj100EEvPKT0_PS4_S4_
                                        ; -- End function
	.set _Z6kernelI14exclusive_scanN15benchmark_utils11custom_typeIddEELj256ELj64ELj100EEvPKT0_PS4_S4_.num_vgpr, 11
	.set _Z6kernelI14exclusive_scanN15benchmark_utils11custom_typeIddEELj256ELj64ELj100EEvPKT0_PS4_S4_.num_agpr, 0
	.set _Z6kernelI14exclusive_scanN15benchmark_utils11custom_typeIddEELj256ELj64ELj100EEvPKT0_PS4_S4_.numbered_sgpr, 21
	.set _Z6kernelI14exclusive_scanN15benchmark_utils11custom_typeIddEELj256ELj64ELj100EEvPKT0_PS4_S4_.num_named_barrier, 0
	.set _Z6kernelI14exclusive_scanN15benchmark_utils11custom_typeIddEELj256ELj64ELj100EEvPKT0_PS4_S4_.private_seg_size, 0
	.set _Z6kernelI14exclusive_scanN15benchmark_utils11custom_typeIddEELj256ELj64ELj100EEvPKT0_PS4_S4_.uses_vcc, 1
	.set _Z6kernelI14exclusive_scanN15benchmark_utils11custom_typeIddEELj256ELj64ELj100EEvPKT0_PS4_S4_.uses_flat_scratch, 0
	.set _Z6kernelI14exclusive_scanN15benchmark_utils11custom_typeIddEELj256ELj64ELj100EEvPKT0_PS4_S4_.has_dyn_sized_stack, 0
	.set _Z6kernelI14exclusive_scanN15benchmark_utils11custom_typeIddEELj256ELj64ELj100EEvPKT0_PS4_S4_.has_recursion, 0
	.set _Z6kernelI14exclusive_scanN15benchmark_utils11custom_typeIddEELj256ELj64ELj100EEvPKT0_PS4_S4_.has_indirect_call, 0
	.section	.AMDGPU.csdata,"",@progbits
; Kernel info:
; codeLenInByte = 712
; TotalNumSgprs: 25
; NumVgprs: 11
; ScratchSize: 0
; MemoryBound: 0
; FloatMode: 240
; IeeeMode: 1
; LDSByteSize: 0 bytes/workgroup (compile time only)
; SGPRBlocks: 3
; VGPRBlocks: 2
; NumSGPRsForWavesPerEU: 25
; NumVGPRsForWavesPerEU: 11
; Occupancy: 10
; WaveLimiterHint : 0
; COMPUTE_PGM_RSRC2:SCRATCH_EN: 0
; COMPUTE_PGM_RSRC2:USER_SGPR: 6
; COMPUTE_PGM_RSRC2:TRAP_HANDLER: 0
; COMPUTE_PGM_RSRC2:TGID_X_EN: 1
; COMPUTE_PGM_RSRC2:TGID_Y_EN: 0
; COMPUTE_PGM_RSRC2:TGID_Z_EN: 0
; COMPUTE_PGM_RSRC2:TIDIG_COMP_CNT: 0
	.section	.text._Z6kernelI14exclusive_scanN15benchmark_utils11custom_typeIidEELj60ELj15ELj100EEvPKT0_PS4_S4_,"axG",@progbits,_Z6kernelI14exclusive_scanN15benchmark_utils11custom_typeIidEELj60ELj15ELj100EEvPKT0_PS4_S4_,comdat
	.protected	_Z6kernelI14exclusive_scanN15benchmark_utils11custom_typeIidEELj60ELj15ELj100EEvPKT0_PS4_S4_ ; -- Begin function _Z6kernelI14exclusive_scanN15benchmark_utils11custom_typeIidEELj60ELj15ELj100EEvPKT0_PS4_S4_
	.globl	_Z6kernelI14exclusive_scanN15benchmark_utils11custom_typeIidEELj60ELj15ELj100EEvPKT0_PS4_S4_
	.p2align	8
	.type	_Z6kernelI14exclusive_scanN15benchmark_utils11custom_typeIidEELj60ELj15ELj100EEvPKT0_PS4_S4_,@function
_Z6kernelI14exclusive_scanN15benchmark_utils11custom_typeIidEELj60ELj15ELj100EEvPKT0_PS4_S4_: ; @_Z6kernelI14exclusive_scanN15benchmark_utils11custom_typeIidEELj60ELj15ELj100EEvPKT0_PS4_S4_
; %bb.0:
	s_load_dword s0, s[4:5], 0x2c
	s_load_dwordx4 s[8:11], s[4:5], 0x0
	s_load_dword s12, s[4:5], 0x10
	v_mov_b32_e32 v1, 0
	s_movk_i32 s13, 0x64
	s_waitcnt lgkmcnt(0)
	s_and_b32 s0, s0, 0xffff
	s_mul_i32 s6, s6, s0
	v_add_u32_e32 v0, s6, v0
	v_lshlrev_b64 v[0:1], 4, v[0:1]
	v_mov_b32_e32 v2, s9
	v_add_co_u32_e32 v5, vcc, s8, v0
	v_addc_co_u32_e32 v6, vcc, v2, v1, vcc
	global_load_dword v4, v[5:6], off
	global_load_dwordx2 v[2:3], v[5:6], off offset:8
	v_mbcnt_lo_u32_b32 v5, -1, 0
	v_mbcnt_hi_u32_b32 v5, -1, v5
	s_mov_b32 s0, 0x11111112
	v_mul_hi_u32 v6, v5, s0
	s_load_dwordx2 s[6:7], s[4:5], 0x18
	v_mul_u32_u24_e32 v6, 15, v6
	v_sub_u32_e32 v6, v5, v6
	v_lshlrev_b32_e32 v5, 4, v6
	v_cmp_ne_u32_e32 vcc, 0, v6
	v_cmp_lt_u32_e64 s[0:1], 1, v6
	v_cmp_lt_u32_e64 s[2:3], 3, v6
	;; [unrolled: 1-line block ×3, first 2 shown]
	v_add_u32_e32 v6, -16, v5
	v_add_u32_e32 v7, -8, v5
	v_subrev_u32_e32 v8, 32, v5
	v_subrev_u32_e32 v9, 24, v5
	;; [unrolled: 1-line block ×4, first 2 shown]
	v_add_u32_e32 v12, 0xffffff80, v5
	v_add_u32_e32 v13, 0xffffff88, v5
	s_branch .LBB88_2
.LBB88_1:                               ;   in Loop: Header=BB88_2 Depth=1
	s_or_b64 exec, exec, s[8:9]
	s_add_i32 s13, s13, -1
	s_cmp_lg_u32 s13, 0
	s_cbranch_scc0 .LBB88_20
.LBB88_2:                               ; =>This Inner Loop Header: Depth=1
	s_waitcnt vmcnt(1)
	ds_write_b32 v5, v4
	s_waitcnt vmcnt(0)
	ds_write_b64 v5, v[2:3] offset:8
	; wave barrier
	s_and_saveexec_b64 s[8:9], vcc
	s_cbranch_execz .LBB88_4
; %bb.3:                                ;   in Loop: Header=BB88_2 Depth=1
	ds_read_b64 v[14:15], v7
	s_waitcnt lgkmcnt(0)
	v_add_f64 v[2:3], v[2:3], v[14:15]
	ds_read_b32 v14, v6
	s_waitcnt lgkmcnt(0)
	v_add_u32_e32 v4, v14, v4
.LBB88_4:                               ;   in Loop: Header=BB88_2 Depth=1
	s_or_b64 exec, exec, s[8:9]
	; wave barrier
	s_and_saveexec_b64 s[8:9], vcc
	s_cbranch_execz .LBB88_6
; %bb.5:                                ;   in Loop: Header=BB88_2 Depth=1
	ds_write_b32 v5, v4
	ds_write_b64 v5, v[2:3] offset:8
.LBB88_6:                               ;   in Loop: Header=BB88_2 Depth=1
	s_or_b64 exec, exec, s[8:9]
	; wave barrier
	s_and_saveexec_b64 s[8:9], s[0:1]
	s_cbranch_execz .LBB88_8
; %bb.7:                                ;   in Loop: Header=BB88_2 Depth=1
	ds_read_b64 v[14:15], v9
	s_waitcnt lgkmcnt(0)
	v_add_f64 v[2:3], v[2:3], v[14:15]
	ds_read_b32 v14, v8
	s_waitcnt lgkmcnt(0)
	v_add_u32_e32 v4, v14, v4
.LBB88_8:                               ;   in Loop: Header=BB88_2 Depth=1
	s_or_b64 exec, exec, s[8:9]
	; wave barrier
	s_and_saveexec_b64 s[8:9], s[0:1]
	s_cbranch_execz .LBB88_10
; %bb.9:                                ;   in Loop: Header=BB88_2 Depth=1
	ds_write_b32 v5, v4
	ds_write_b64 v5, v[2:3] offset:8
.LBB88_10:                              ;   in Loop: Header=BB88_2 Depth=1
	s_or_b64 exec, exec, s[8:9]
	; wave barrier
	s_and_saveexec_b64 s[8:9], s[2:3]
	s_cbranch_execz .LBB88_12
; %bb.11:                               ;   in Loop: Header=BB88_2 Depth=1
	ds_read_b64 v[14:15], v11
	s_waitcnt lgkmcnt(0)
	v_add_f64 v[2:3], v[2:3], v[14:15]
	ds_read_b32 v14, v10
	s_waitcnt lgkmcnt(0)
	v_add_u32_e32 v4, v14, v4
.LBB88_12:                              ;   in Loop: Header=BB88_2 Depth=1
	s_or_b64 exec, exec, s[8:9]
	; wave barrier
	s_and_saveexec_b64 s[8:9], s[2:3]
	s_cbranch_execz .LBB88_14
; %bb.13:                               ;   in Loop: Header=BB88_2 Depth=1
	ds_write_b32 v5, v4
	ds_write_b64 v5, v[2:3] offset:8
.LBB88_14:                              ;   in Loop: Header=BB88_2 Depth=1
	s_or_b64 exec, exec, s[8:9]
	; wave barrier
	s_and_saveexec_b64 s[8:9], s[4:5]
	s_cbranch_execz .LBB88_16
; %bb.15:                               ;   in Loop: Header=BB88_2 Depth=1
	ds_read_b64 v[14:15], v13
	s_waitcnt lgkmcnt(0)
	v_add_f64 v[2:3], v[2:3], v[14:15]
	ds_read_b32 v14, v12
	s_waitcnt lgkmcnt(0)
	v_add_u32_e32 v4, v14, v4
.LBB88_16:                              ;   in Loop: Header=BB88_2 Depth=1
	s_or_b64 exec, exec, s[8:9]
	; wave barrier
	s_and_saveexec_b64 s[8:9], s[4:5]
	s_cbranch_execz .LBB88_18
; %bb.17:                               ;   in Loop: Header=BB88_2 Depth=1
	ds_write_b32 v5, v4
	ds_write_b64 v5, v[2:3] offset:8
.LBB88_18:                              ;   in Loop: Header=BB88_2 Depth=1
	s_or_b64 exec, exec, s[8:9]
	s_waitcnt lgkmcnt(0)
	v_mov_b32_e32 v2, s6
	v_mov_b32_e32 v4, s12
	;; [unrolled: 1-line block ×3, first 2 shown]
	; wave barrier
	s_and_saveexec_b64 s[8:9], vcc
	s_cbranch_execz .LBB88_1
; %bb.19:                               ;   in Loop: Header=BB88_2 Depth=1
	ds_read_b64 v[2:3], v7
	ds_read_b32 v4, v6
	s_waitcnt lgkmcnt(1)
	v_add_f64 v[2:3], s[6:7], v[2:3]
	s_waitcnt lgkmcnt(0)
	v_add_u32_e32 v4, s12, v4
	s_branch .LBB88_1
.LBB88_20:
	v_mov_b32_e32 v5, s11
	v_add_co_u32_e32 v0, vcc, s10, v0
	v_addc_co_u32_e32 v1, vcc, v5, v1, vcc
	global_store_dword v[0:1], v4, off
	global_store_dwordx2 v[0:1], v[2:3], off offset:8
	s_endpgm
	.section	.rodata,"a",@progbits
	.p2align	6, 0x0
	.amdhsa_kernel _Z6kernelI14exclusive_scanN15benchmark_utils11custom_typeIidEELj60ELj15ELj100EEvPKT0_PS4_S4_
		.amdhsa_group_segment_fixed_size 240
		.amdhsa_private_segment_fixed_size 0
		.amdhsa_kernarg_size 288
		.amdhsa_user_sgpr_count 6
		.amdhsa_user_sgpr_private_segment_buffer 1
		.amdhsa_user_sgpr_dispatch_ptr 0
		.amdhsa_user_sgpr_queue_ptr 0
		.amdhsa_user_sgpr_kernarg_segment_ptr 1
		.amdhsa_user_sgpr_dispatch_id 0
		.amdhsa_user_sgpr_flat_scratch_init 0
		.amdhsa_user_sgpr_private_segment_size 0
		.amdhsa_uses_dynamic_stack 0
		.amdhsa_system_sgpr_private_segment_wavefront_offset 0
		.amdhsa_system_sgpr_workgroup_id_x 1
		.amdhsa_system_sgpr_workgroup_id_y 0
		.amdhsa_system_sgpr_workgroup_id_z 0
		.amdhsa_system_sgpr_workgroup_info 0
		.amdhsa_system_vgpr_workitem_id 0
		.amdhsa_next_free_vgpr 16
		.amdhsa_next_free_sgpr 14
		.amdhsa_reserve_vcc 1
		.amdhsa_reserve_flat_scratch 0
		.amdhsa_float_round_mode_32 0
		.amdhsa_float_round_mode_16_64 0
		.amdhsa_float_denorm_mode_32 3
		.amdhsa_float_denorm_mode_16_64 3
		.amdhsa_dx10_clamp 1
		.amdhsa_ieee_mode 1
		.amdhsa_fp16_overflow 0
		.amdhsa_exception_fp_ieee_invalid_op 0
		.amdhsa_exception_fp_denorm_src 0
		.amdhsa_exception_fp_ieee_div_zero 0
		.amdhsa_exception_fp_ieee_overflow 0
		.amdhsa_exception_fp_ieee_underflow 0
		.amdhsa_exception_fp_ieee_inexact 0
		.amdhsa_exception_int_div_zero 0
	.end_amdhsa_kernel
	.section	.text._Z6kernelI14exclusive_scanN15benchmark_utils11custom_typeIidEELj60ELj15ELj100EEvPKT0_PS4_S4_,"axG",@progbits,_Z6kernelI14exclusive_scanN15benchmark_utils11custom_typeIidEELj60ELj15ELj100EEvPKT0_PS4_S4_,comdat
.Lfunc_end88:
	.size	_Z6kernelI14exclusive_scanN15benchmark_utils11custom_typeIidEELj60ELj15ELj100EEvPKT0_PS4_S4_, .Lfunc_end88-_Z6kernelI14exclusive_scanN15benchmark_utils11custom_typeIidEELj60ELj15ELj100EEvPKT0_PS4_S4_
                                        ; -- End function
	.set _Z6kernelI14exclusive_scanN15benchmark_utils11custom_typeIidEELj60ELj15ELj100EEvPKT0_PS4_S4_.num_vgpr, 16
	.set _Z6kernelI14exclusive_scanN15benchmark_utils11custom_typeIidEELj60ELj15ELj100EEvPKT0_PS4_S4_.num_agpr, 0
	.set _Z6kernelI14exclusive_scanN15benchmark_utils11custom_typeIidEELj60ELj15ELj100EEvPKT0_PS4_S4_.numbered_sgpr, 14
	.set _Z6kernelI14exclusive_scanN15benchmark_utils11custom_typeIidEELj60ELj15ELj100EEvPKT0_PS4_S4_.num_named_barrier, 0
	.set _Z6kernelI14exclusive_scanN15benchmark_utils11custom_typeIidEELj60ELj15ELj100EEvPKT0_PS4_S4_.private_seg_size, 0
	.set _Z6kernelI14exclusive_scanN15benchmark_utils11custom_typeIidEELj60ELj15ELj100EEvPKT0_PS4_S4_.uses_vcc, 1
	.set _Z6kernelI14exclusive_scanN15benchmark_utils11custom_typeIidEELj60ELj15ELj100EEvPKT0_PS4_S4_.uses_flat_scratch, 0
	.set _Z6kernelI14exclusive_scanN15benchmark_utils11custom_typeIidEELj60ELj15ELj100EEvPKT0_PS4_S4_.has_dyn_sized_stack, 0
	.set _Z6kernelI14exclusive_scanN15benchmark_utils11custom_typeIidEELj60ELj15ELj100EEvPKT0_PS4_S4_.has_recursion, 0
	.set _Z6kernelI14exclusive_scanN15benchmark_utils11custom_typeIidEELj60ELj15ELj100EEvPKT0_PS4_S4_.has_indirect_call, 0
	.section	.AMDGPU.csdata,"",@progbits
; Kernel info:
; codeLenInByte = 652
; TotalNumSgprs: 18
; NumVgprs: 16
; ScratchSize: 0
; MemoryBound: 0
; FloatMode: 240
; IeeeMode: 1
; LDSByteSize: 240 bytes/workgroup (compile time only)
; SGPRBlocks: 2
; VGPRBlocks: 3
; NumSGPRsForWavesPerEU: 18
; NumVGPRsForWavesPerEU: 16
; Occupancy: 10
; WaveLimiterHint : 0
; COMPUTE_PGM_RSRC2:SCRATCH_EN: 0
; COMPUTE_PGM_RSRC2:USER_SGPR: 6
; COMPUTE_PGM_RSRC2:TRAP_HANDLER: 0
; COMPUTE_PGM_RSRC2:TGID_X_EN: 1
; COMPUTE_PGM_RSRC2:TGID_Y_EN: 0
; COMPUTE_PGM_RSRC2:TGID_Z_EN: 0
; COMPUTE_PGM_RSRC2:TIDIG_COMP_CNT: 0
	.section	.text._Z6kernelI14exclusive_scanN15benchmark_utils11custom_typeIidEELj256ELj16ELj100EEvPKT0_PS4_S4_,"axG",@progbits,_Z6kernelI14exclusive_scanN15benchmark_utils11custom_typeIidEELj256ELj16ELj100EEvPKT0_PS4_S4_,comdat
	.protected	_Z6kernelI14exclusive_scanN15benchmark_utils11custom_typeIidEELj256ELj16ELj100EEvPKT0_PS4_S4_ ; -- Begin function _Z6kernelI14exclusive_scanN15benchmark_utils11custom_typeIidEELj256ELj16ELj100EEvPKT0_PS4_S4_
	.globl	_Z6kernelI14exclusive_scanN15benchmark_utils11custom_typeIidEELj256ELj16ELj100EEvPKT0_PS4_S4_
	.p2align	8
	.type	_Z6kernelI14exclusive_scanN15benchmark_utils11custom_typeIidEELj256ELj16ELj100EEvPKT0_PS4_S4_,@function
_Z6kernelI14exclusive_scanN15benchmark_utils11custom_typeIidEELj256ELj16ELj100EEvPKT0_PS4_S4_: ; @_Z6kernelI14exclusive_scanN15benchmark_utils11custom_typeIidEELj256ELj16ELj100EEvPKT0_PS4_S4_
; %bb.0:
	s_load_dword s0, s[4:5], 0x2c
	s_load_dwordx4 s[8:11], s[4:5], 0x0
	s_load_dword s14, s[4:5], 0x10
	v_mov_b32_e32 v1, 0
	s_load_dwordx2 s[12:13], s[4:5], 0x18
	s_waitcnt lgkmcnt(0)
	s_and_b32 s0, s0, 0xffff
	s_mul_i32 s6, s6, s0
	v_add_u32_e32 v0, s6, v0
	v_lshlrev_b64 v[0:1], 4, v[0:1]
	v_mov_b32_e32 v2, s9
	v_add_co_u32_e32 v4, vcc, s8, v0
	v_addc_co_u32_e32 v5, vcc, v2, v1, vcc
	global_load_dword v6, v[4:5], off
	global_load_dwordx2 v[2:3], v[4:5], off offset:8
	v_mbcnt_lo_u32_b32 v4, -1, 0
	v_mbcnt_hi_u32_b32 v4, -1, v4
	v_and_b32_e32 v5, 15, v4
	v_cmp_eq_u32_e32 vcc, 0, v5
	v_cmp_ne_u32_e64 s[0:1], 0, v5
	v_cmp_lt_u32_e64 s[2:3], 1, v5
	v_cmp_lt_u32_e64 s[4:5], 3, v5
	;; [unrolled: 1-line block ×3, first 2 shown]
	v_add_u32_e32 v5, -1, v4
	v_and_b32_e32 v7, 0x70, v4
	v_cmp_lt_i32_e64 s[8:9], v5, v7
	v_cndmask_b32_e64 v4, v5, v4, s[8:9]
	v_lshlrev_b32_e32 v7, 2, v4
	s_movk_i32 s15, 0x64
	s_branch .LBB89_2
.LBB89_1:                               ;   in Loop: Header=BB89_2 Depth=1
	s_or_b64 exec, exec, s[8:9]
	v_add_f64 v[2:3], s[12:13], v[2:3]
	v_add_u32_e32 v4, s14, v6
	ds_bpermute_b32 v4, v7, v4
	v_mov_b32_e32 v5, s14
	v_mov_b32_e32 v8, s13
	;; [unrolled: 1-line block ×3, first 2 shown]
	s_add_i32 s15, s15, -1
	s_cmp_lg_u32 s15, 0
	ds_bpermute_b32 v3, v7, v3
	ds_bpermute_b32 v2, v7, v2
	s_waitcnt lgkmcnt(2)
	v_cndmask_b32_e32 v6, v4, v5, vcc
	s_waitcnt lgkmcnt(1)
	v_cndmask_b32_e32 v3, v3, v8, vcc
	;; [unrolled: 2-line block ×3, first 2 shown]
	s_cbranch_scc0 .LBB89_10
.LBB89_2:                               ; =>This Inner Loop Header: Depth=1
	s_waitcnt vmcnt(1)
	v_mov_b32_dpp v8, v6 row_shr:1 row_mask:0xf bank_mask:0xf
	s_waitcnt vmcnt(0)
	v_mov_b32_dpp v4, v2 row_shr:1 row_mask:0xf bank_mask:0xf
	v_mov_b32_dpp v5, v3 row_shr:1 row_mask:0xf bank_mask:0xf
	s_and_saveexec_b64 s[8:9], s[0:1]
; %bb.3:                                ;   in Loop: Header=BB89_2 Depth=1
	v_add_f64 v[2:3], v[2:3], v[4:5]
	v_add_u32_e32 v6, v8, v6
; %bb.4:                                ;   in Loop: Header=BB89_2 Depth=1
	s_or_b64 exec, exec, s[8:9]
	s_nop 0
	v_mov_b32_dpp v8, v6 row_shr:2 row_mask:0xf bank_mask:0xf
	v_mov_b32_dpp v4, v2 row_shr:2 row_mask:0xf bank_mask:0xf
	v_mov_b32_dpp v5, v3 row_shr:2 row_mask:0xf bank_mask:0xf
	s_and_saveexec_b64 s[8:9], s[2:3]
; %bb.5:                                ;   in Loop: Header=BB89_2 Depth=1
	v_add_f64 v[2:3], v[2:3], v[4:5]
	v_add_u32_e32 v6, v8, v6
; %bb.6:                                ;   in Loop: Header=BB89_2 Depth=1
	s_or_b64 exec, exec, s[8:9]
	s_nop 0
	v_mov_b32_dpp v8, v6 row_shr:4 row_mask:0xf bank_mask:0xf
	;; [unrolled: 10-line block ×3, first 2 shown]
	v_mov_b32_dpp v4, v2 row_shr:8 row_mask:0xf bank_mask:0xf
	v_mov_b32_dpp v5, v3 row_shr:8 row_mask:0xf bank_mask:0xf
	s_and_saveexec_b64 s[8:9], s[6:7]
	s_cbranch_execz .LBB89_1
; %bb.9:                                ;   in Loop: Header=BB89_2 Depth=1
	v_add_f64 v[2:3], v[2:3], v[4:5]
	v_add_u32_e32 v6, v8, v6
	s_branch .LBB89_1
.LBB89_10:
	v_mov_b32_e32 v4, s11
	v_add_co_u32_e32 v0, vcc, s10, v0
	v_addc_co_u32_e32 v1, vcc, v4, v1, vcc
	global_store_dword v[0:1], v6, off
	global_store_dwordx2 v[0:1], v[2:3], off offset:8
	s_endpgm
	.section	.rodata,"a",@progbits
	.p2align	6, 0x0
	.amdhsa_kernel _Z6kernelI14exclusive_scanN15benchmark_utils11custom_typeIidEELj256ELj16ELj100EEvPKT0_PS4_S4_
		.amdhsa_group_segment_fixed_size 0
		.amdhsa_private_segment_fixed_size 0
		.amdhsa_kernarg_size 288
		.amdhsa_user_sgpr_count 6
		.amdhsa_user_sgpr_private_segment_buffer 1
		.amdhsa_user_sgpr_dispatch_ptr 0
		.amdhsa_user_sgpr_queue_ptr 0
		.amdhsa_user_sgpr_kernarg_segment_ptr 1
		.amdhsa_user_sgpr_dispatch_id 0
		.amdhsa_user_sgpr_flat_scratch_init 0
		.amdhsa_user_sgpr_private_segment_size 0
		.amdhsa_uses_dynamic_stack 0
		.amdhsa_system_sgpr_private_segment_wavefront_offset 0
		.amdhsa_system_sgpr_workgroup_id_x 1
		.amdhsa_system_sgpr_workgroup_id_y 0
		.amdhsa_system_sgpr_workgroup_id_z 0
		.amdhsa_system_sgpr_workgroup_info 0
		.amdhsa_system_vgpr_workitem_id 0
		.amdhsa_next_free_vgpr 10
		.amdhsa_next_free_sgpr 16
		.amdhsa_reserve_vcc 1
		.amdhsa_reserve_flat_scratch 0
		.amdhsa_float_round_mode_32 0
		.amdhsa_float_round_mode_16_64 0
		.amdhsa_float_denorm_mode_32 3
		.amdhsa_float_denorm_mode_16_64 3
		.amdhsa_dx10_clamp 1
		.amdhsa_ieee_mode 1
		.amdhsa_fp16_overflow 0
		.amdhsa_exception_fp_ieee_invalid_op 0
		.amdhsa_exception_fp_denorm_src 0
		.amdhsa_exception_fp_ieee_div_zero 0
		.amdhsa_exception_fp_ieee_overflow 0
		.amdhsa_exception_fp_ieee_underflow 0
		.amdhsa_exception_fp_ieee_inexact 0
		.amdhsa_exception_int_div_zero 0
	.end_amdhsa_kernel
	.section	.text._Z6kernelI14exclusive_scanN15benchmark_utils11custom_typeIidEELj256ELj16ELj100EEvPKT0_PS4_S4_,"axG",@progbits,_Z6kernelI14exclusive_scanN15benchmark_utils11custom_typeIidEELj256ELj16ELj100EEvPKT0_PS4_S4_,comdat
.Lfunc_end89:
	.size	_Z6kernelI14exclusive_scanN15benchmark_utils11custom_typeIidEELj256ELj16ELj100EEvPKT0_PS4_S4_, .Lfunc_end89-_Z6kernelI14exclusive_scanN15benchmark_utils11custom_typeIidEELj256ELj16ELj100EEvPKT0_PS4_S4_
                                        ; -- End function
	.set _Z6kernelI14exclusive_scanN15benchmark_utils11custom_typeIidEELj256ELj16ELj100EEvPKT0_PS4_S4_.num_vgpr, 10
	.set _Z6kernelI14exclusive_scanN15benchmark_utils11custom_typeIidEELj256ELj16ELj100EEvPKT0_PS4_S4_.num_agpr, 0
	.set _Z6kernelI14exclusive_scanN15benchmark_utils11custom_typeIidEELj256ELj16ELj100EEvPKT0_PS4_S4_.numbered_sgpr, 16
	.set _Z6kernelI14exclusive_scanN15benchmark_utils11custom_typeIidEELj256ELj16ELj100EEvPKT0_PS4_S4_.num_named_barrier, 0
	.set _Z6kernelI14exclusive_scanN15benchmark_utils11custom_typeIidEELj256ELj16ELj100EEvPKT0_PS4_S4_.private_seg_size, 0
	.set _Z6kernelI14exclusive_scanN15benchmark_utils11custom_typeIidEELj256ELj16ELj100EEvPKT0_PS4_S4_.uses_vcc, 1
	.set _Z6kernelI14exclusive_scanN15benchmark_utils11custom_typeIidEELj256ELj16ELj100EEvPKT0_PS4_S4_.uses_flat_scratch, 0
	.set _Z6kernelI14exclusive_scanN15benchmark_utils11custom_typeIidEELj256ELj16ELj100EEvPKT0_PS4_S4_.has_dyn_sized_stack, 0
	.set _Z6kernelI14exclusive_scanN15benchmark_utils11custom_typeIidEELj256ELj16ELj100EEvPKT0_PS4_S4_.has_recursion, 0
	.set _Z6kernelI14exclusive_scanN15benchmark_utils11custom_typeIidEELj256ELj16ELj100EEvPKT0_PS4_S4_.has_indirect_call, 0
	.section	.AMDGPU.csdata,"",@progbits
; Kernel info:
; codeLenInByte = 508
; TotalNumSgprs: 20
; NumVgprs: 10
; ScratchSize: 0
; MemoryBound: 0
; FloatMode: 240
; IeeeMode: 1
; LDSByteSize: 0 bytes/workgroup (compile time only)
; SGPRBlocks: 2
; VGPRBlocks: 2
; NumSGPRsForWavesPerEU: 20
; NumVGPRsForWavesPerEU: 10
; Occupancy: 10
; WaveLimiterHint : 0
; COMPUTE_PGM_RSRC2:SCRATCH_EN: 0
; COMPUTE_PGM_RSRC2:USER_SGPR: 6
; COMPUTE_PGM_RSRC2:TRAP_HANDLER: 0
; COMPUTE_PGM_RSRC2:TGID_X_EN: 1
; COMPUTE_PGM_RSRC2:TGID_Y_EN: 0
; COMPUTE_PGM_RSRC2:TGID_Z_EN: 0
; COMPUTE_PGM_RSRC2:TIDIG_COMP_CNT: 0
	.section	.text._Z6kernelI14exclusive_scanN15benchmark_utils11custom_typeIidEELj62ELj31ELj100EEvPKT0_PS4_S4_,"axG",@progbits,_Z6kernelI14exclusive_scanN15benchmark_utils11custom_typeIidEELj62ELj31ELj100EEvPKT0_PS4_S4_,comdat
	.protected	_Z6kernelI14exclusive_scanN15benchmark_utils11custom_typeIidEELj62ELj31ELj100EEvPKT0_PS4_S4_ ; -- Begin function _Z6kernelI14exclusive_scanN15benchmark_utils11custom_typeIidEELj62ELj31ELj100EEvPKT0_PS4_S4_
	.globl	_Z6kernelI14exclusive_scanN15benchmark_utils11custom_typeIidEELj62ELj31ELj100EEvPKT0_PS4_S4_
	.p2align	8
	.type	_Z6kernelI14exclusive_scanN15benchmark_utils11custom_typeIidEELj62ELj31ELj100EEvPKT0_PS4_S4_,@function
_Z6kernelI14exclusive_scanN15benchmark_utils11custom_typeIidEELj62ELj31ELj100EEvPKT0_PS4_S4_: ; @_Z6kernelI14exclusive_scanN15benchmark_utils11custom_typeIidEELj62ELj31ELj100EEvPKT0_PS4_S4_
; %bb.0:
	s_load_dword s0, s[4:5], 0x2c
	s_load_dwordx4 s[8:11], s[4:5], 0x0
	s_load_dword s14, s[4:5], 0x10
	v_mov_b32_e32 v1, 0
	s_movk_i32 s15, 0x64
	s_waitcnt lgkmcnt(0)
	s_and_b32 s0, s0, 0xffff
	s_mul_i32 s6, s6, s0
	v_add_u32_e32 v0, s6, v0
	v_lshlrev_b64 v[0:1], 4, v[0:1]
	v_mov_b32_e32 v2, s9
	v_add_co_u32_e32 v5, vcc, s8, v0
	v_addc_co_u32_e32 v6, vcc, v2, v1, vcc
	global_load_dword v4, v[5:6], off
	global_load_dwordx2 v[2:3], v[5:6], off offset:8
	v_mbcnt_lo_u32_b32 v5, -1, 0
	v_mbcnt_hi_u32_b32 v5, -1, v5
	s_mov_b32 s0, 0x8421085
	v_mul_hi_u32 v6, v5, s0
	s_load_dwordx2 s[8:9], s[4:5], 0x18
	v_mul_u32_u24_e32 v6, 31, v6
	v_sub_u32_e32 v6, v5, v6
	v_lshlrev_b32_e32 v5, 4, v6
	v_cmp_ne_u32_e32 vcc, 0, v6
	v_cmp_lt_u32_e64 s[0:1], 1, v6
	v_cmp_lt_u32_e64 s[2:3], 3, v6
	v_cmp_lt_u32_e64 s[4:5], 7, v6
	v_cmp_lt_u32_e64 s[6:7], 15, v6
	v_add_u32_e32 v6, -16, v5
	v_add_u32_e32 v7, -8, v5
	v_subrev_u32_e32 v8, 32, v5
	v_subrev_u32_e32 v9, 24, v5
	;; [unrolled: 1-line block ×4, first 2 shown]
	v_add_u32_e32 v12, 0xffffff80, v5
	v_add_u32_e32 v13, 0xffffff88, v5
	;; [unrolled: 1-line block ×4, first 2 shown]
	s_branch .LBB90_2
.LBB90_1:                               ;   in Loop: Header=BB90_2 Depth=1
	s_or_b64 exec, exec, s[12:13]
	s_add_i32 s15, s15, -1
	s_cmp_lg_u32 s15, 0
	s_cbranch_scc0 .LBB90_24
.LBB90_2:                               ; =>This Inner Loop Header: Depth=1
	s_waitcnt vmcnt(1)
	ds_write_b32 v5, v4
	s_waitcnt vmcnt(0)
	ds_write_b64 v5, v[2:3] offset:8
	; wave barrier
	s_and_saveexec_b64 s[12:13], vcc
	s_cbranch_execz .LBB90_4
; %bb.3:                                ;   in Loop: Header=BB90_2 Depth=1
	ds_read_b64 v[16:17], v7
	s_waitcnt lgkmcnt(0)
	v_add_f64 v[2:3], v[2:3], v[16:17]
	ds_read_b32 v16, v6
	s_waitcnt lgkmcnt(0)
	v_add_u32_e32 v4, v16, v4
.LBB90_4:                               ;   in Loop: Header=BB90_2 Depth=1
	s_or_b64 exec, exec, s[12:13]
	; wave barrier
	s_and_saveexec_b64 s[12:13], vcc
	s_cbranch_execz .LBB90_6
; %bb.5:                                ;   in Loop: Header=BB90_2 Depth=1
	ds_write_b32 v5, v4
	ds_write_b64 v5, v[2:3] offset:8
.LBB90_6:                               ;   in Loop: Header=BB90_2 Depth=1
	s_or_b64 exec, exec, s[12:13]
	; wave barrier
	s_and_saveexec_b64 s[12:13], s[0:1]
	s_cbranch_execz .LBB90_8
; %bb.7:                                ;   in Loop: Header=BB90_2 Depth=1
	ds_read_b64 v[16:17], v9
	s_waitcnt lgkmcnt(0)
	v_add_f64 v[2:3], v[2:3], v[16:17]
	ds_read_b32 v16, v8
	s_waitcnt lgkmcnt(0)
	v_add_u32_e32 v4, v16, v4
.LBB90_8:                               ;   in Loop: Header=BB90_2 Depth=1
	s_or_b64 exec, exec, s[12:13]
	; wave barrier
	s_and_saveexec_b64 s[12:13], s[0:1]
	s_cbranch_execz .LBB90_10
; %bb.9:                                ;   in Loop: Header=BB90_2 Depth=1
	ds_write_b32 v5, v4
	ds_write_b64 v5, v[2:3] offset:8
.LBB90_10:                              ;   in Loop: Header=BB90_2 Depth=1
	s_or_b64 exec, exec, s[12:13]
	; wave barrier
	s_and_saveexec_b64 s[12:13], s[2:3]
	s_cbranch_execz .LBB90_12
; %bb.11:                               ;   in Loop: Header=BB90_2 Depth=1
	ds_read_b64 v[16:17], v11
	s_waitcnt lgkmcnt(0)
	v_add_f64 v[2:3], v[2:3], v[16:17]
	ds_read_b32 v16, v10
	s_waitcnt lgkmcnt(0)
	v_add_u32_e32 v4, v16, v4
.LBB90_12:                              ;   in Loop: Header=BB90_2 Depth=1
	s_or_b64 exec, exec, s[12:13]
	; wave barrier
	s_and_saveexec_b64 s[12:13], s[2:3]
	s_cbranch_execz .LBB90_14
; %bb.13:                               ;   in Loop: Header=BB90_2 Depth=1
	ds_write_b32 v5, v4
	ds_write_b64 v5, v[2:3] offset:8
.LBB90_14:                              ;   in Loop: Header=BB90_2 Depth=1
	s_or_b64 exec, exec, s[12:13]
	; wave barrier
	s_and_saveexec_b64 s[12:13], s[4:5]
	s_cbranch_execz .LBB90_16
; %bb.15:                               ;   in Loop: Header=BB90_2 Depth=1
	ds_read_b64 v[16:17], v13
	s_waitcnt lgkmcnt(0)
	v_add_f64 v[2:3], v[2:3], v[16:17]
	ds_read_b32 v16, v12
	s_waitcnt lgkmcnt(0)
	v_add_u32_e32 v4, v16, v4
.LBB90_16:                              ;   in Loop: Header=BB90_2 Depth=1
	s_or_b64 exec, exec, s[12:13]
	; wave barrier
	s_and_saveexec_b64 s[12:13], s[4:5]
	s_cbranch_execz .LBB90_18
; %bb.17:                               ;   in Loop: Header=BB90_2 Depth=1
	ds_write_b32 v5, v4
	ds_write_b64 v5, v[2:3] offset:8
.LBB90_18:                              ;   in Loop: Header=BB90_2 Depth=1
	;; [unrolled: 20-line block ×3, first 2 shown]
	s_or_b64 exec, exec, s[12:13]
	s_waitcnt lgkmcnt(0)
	v_mov_b32_e32 v2, s8
	v_mov_b32_e32 v4, s14
	;; [unrolled: 1-line block ×3, first 2 shown]
	; wave barrier
	s_and_saveexec_b64 s[12:13], vcc
	s_cbranch_execz .LBB90_1
; %bb.23:                               ;   in Loop: Header=BB90_2 Depth=1
	ds_read_b64 v[2:3], v7
	ds_read_b32 v4, v6
	s_waitcnt lgkmcnt(1)
	v_add_f64 v[2:3], s[8:9], v[2:3]
	s_waitcnt lgkmcnt(0)
	v_add_u32_e32 v4, s14, v4
	s_branch .LBB90_1
.LBB90_24:
	v_mov_b32_e32 v5, s11
	v_add_co_u32_e32 v0, vcc, s10, v0
	v_addc_co_u32_e32 v1, vcc, v5, v1, vcc
	global_store_dword v[0:1], v4, off
	global_store_dwordx2 v[0:1], v[2:3], off offset:8
	s_endpgm
	.section	.rodata,"a",@progbits
	.p2align	6, 0x0
	.amdhsa_kernel _Z6kernelI14exclusive_scanN15benchmark_utils11custom_typeIidEELj62ELj31ELj100EEvPKT0_PS4_S4_
		.amdhsa_group_segment_fixed_size 496
		.amdhsa_private_segment_fixed_size 0
		.amdhsa_kernarg_size 288
		.amdhsa_user_sgpr_count 6
		.amdhsa_user_sgpr_private_segment_buffer 1
		.amdhsa_user_sgpr_dispatch_ptr 0
		.amdhsa_user_sgpr_queue_ptr 0
		.amdhsa_user_sgpr_kernarg_segment_ptr 1
		.amdhsa_user_sgpr_dispatch_id 0
		.amdhsa_user_sgpr_flat_scratch_init 0
		.amdhsa_user_sgpr_private_segment_size 0
		.amdhsa_uses_dynamic_stack 0
		.amdhsa_system_sgpr_private_segment_wavefront_offset 0
		.amdhsa_system_sgpr_workgroup_id_x 1
		.amdhsa_system_sgpr_workgroup_id_y 0
		.amdhsa_system_sgpr_workgroup_id_z 0
		.amdhsa_system_sgpr_workgroup_info 0
		.amdhsa_system_vgpr_workitem_id 0
		.amdhsa_next_free_vgpr 18
		.amdhsa_next_free_sgpr 16
		.amdhsa_reserve_vcc 1
		.amdhsa_reserve_flat_scratch 0
		.amdhsa_float_round_mode_32 0
		.amdhsa_float_round_mode_16_64 0
		.amdhsa_float_denorm_mode_32 3
		.amdhsa_float_denorm_mode_16_64 3
		.amdhsa_dx10_clamp 1
		.amdhsa_ieee_mode 1
		.amdhsa_fp16_overflow 0
		.amdhsa_exception_fp_ieee_invalid_op 0
		.amdhsa_exception_fp_denorm_src 0
		.amdhsa_exception_fp_ieee_div_zero 0
		.amdhsa_exception_fp_ieee_overflow 0
		.amdhsa_exception_fp_ieee_underflow 0
		.amdhsa_exception_fp_ieee_inexact 0
		.amdhsa_exception_int_div_zero 0
	.end_amdhsa_kernel
	.section	.text._Z6kernelI14exclusive_scanN15benchmark_utils11custom_typeIidEELj62ELj31ELj100EEvPKT0_PS4_S4_,"axG",@progbits,_Z6kernelI14exclusive_scanN15benchmark_utils11custom_typeIidEELj62ELj31ELj100EEvPKT0_PS4_S4_,comdat
.Lfunc_end90:
	.size	_Z6kernelI14exclusive_scanN15benchmark_utils11custom_typeIidEELj62ELj31ELj100EEvPKT0_PS4_S4_, .Lfunc_end90-_Z6kernelI14exclusive_scanN15benchmark_utils11custom_typeIidEELj62ELj31ELj100EEvPKT0_PS4_S4_
                                        ; -- End function
	.set _Z6kernelI14exclusive_scanN15benchmark_utils11custom_typeIidEELj62ELj31ELj100EEvPKT0_PS4_S4_.num_vgpr, 18
	.set _Z6kernelI14exclusive_scanN15benchmark_utils11custom_typeIidEELj62ELj31ELj100EEvPKT0_PS4_S4_.num_agpr, 0
	.set _Z6kernelI14exclusive_scanN15benchmark_utils11custom_typeIidEELj62ELj31ELj100EEvPKT0_PS4_S4_.numbered_sgpr, 16
	.set _Z6kernelI14exclusive_scanN15benchmark_utils11custom_typeIidEELj62ELj31ELj100EEvPKT0_PS4_S4_.num_named_barrier, 0
	.set _Z6kernelI14exclusive_scanN15benchmark_utils11custom_typeIidEELj62ELj31ELj100EEvPKT0_PS4_S4_.private_seg_size, 0
	.set _Z6kernelI14exclusive_scanN15benchmark_utils11custom_typeIidEELj62ELj31ELj100EEvPKT0_PS4_S4_.uses_vcc, 1
	.set _Z6kernelI14exclusive_scanN15benchmark_utils11custom_typeIidEELj62ELj31ELj100EEvPKT0_PS4_S4_.uses_flat_scratch, 0
	.set _Z6kernelI14exclusive_scanN15benchmark_utils11custom_typeIidEELj62ELj31ELj100EEvPKT0_PS4_S4_.has_dyn_sized_stack, 0
	.set _Z6kernelI14exclusive_scanN15benchmark_utils11custom_typeIidEELj62ELj31ELj100EEvPKT0_PS4_S4_.has_recursion, 0
	.set _Z6kernelI14exclusive_scanN15benchmark_utils11custom_typeIidEELj62ELj31ELj100EEvPKT0_PS4_S4_.has_indirect_call, 0
	.section	.AMDGPU.csdata,"",@progbits
; Kernel info:
; codeLenInByte = 752
; TotalNumSgprs: 20
; NumVgprs: 18
; ScratchSize: 0
; MemoryBound: 0
; FloatMode: 240
; IeeeMode: 1
; LDSByteSize: 496 bytes/workgroup (compile time only)
; SGPRBlocks: 2
; VGPRBlocks: 4
; NumSGPRsForWavesPerEU: 20
; NumVGPRsForWavesPerEU: 18
; Occupancy: 10
; WaveLimiterHint : 0
; COMPUTE_PGM_RSRC2:SCRATCH_EN: 0
; COMPUTE_PGM_RSRC2:USER_SGPR: 6
; COMPUTE_PGM_RSRC2:TRAP_HANDLER: 0
; COMPUTE_PGM_RSRC2:TGID_X_EN: 1
; COMPUTE_PGM_RSRC2:TGID_Y_EN: 0
; COMPUTE_PGM_RSRC2:TGID_Z_EN: 0
; COMPUTE_PGM_RSRC2:TIDIG_COMP_CNT: 0
	.section	.text._Z6kernelI14exclusive_scanN15benchmark_utils11custom_typeIidEELj256ELj32ELj100EEvPKT0_PS4_S4_,"axG",@progbits,_Z6kernelI14exclusive_scanN15benchmark_utils11custom_typeIidEELj256ELj32ELj100EEvPKT0_PS4_S4_,comdat
	.protected	_Z6kernelI14exclusive_scanN15benchmark_utils11custom_typeIidEELj256ELj32ELj100EEvPKT0_PS4_S4_ ; -- Begin function _Z6kernelI14exclusive_scanN15benchmark_utils11custom_typeIidEELj256ELj32ELj100EEvPKT0_PS4_S4_
	.globl	_Z6kernelI14exclusive_scanN15benchmark_utils11custom_typeIidEELj256ELj32ELj100EEvPKT0_PS4_S4_
	.p2align	8
	.type	_Z6kernelI14exclusive_scanN15benchmark_utils11custom_typeIidEELj256ELj32ELj100EEvPKT0_PS4_S4_,@function
_Z6kernelI14exclusive_scanN15benchmark_utils11custom_typeIidEELj256ELj32ELj100EEvPKT0_PS4_S4_: ; @_Z6kernelI14exclusive_scanN15benchmark_utils11custom_typeIidEELj256ELj32ELj100EEvPKT0_PS4_S4_
; %bb.0:
	s_load_dword s0, s[4:5], 0x2c
	s_load_dwordx4 s[8:11], s[4:5], 0x0
	s_load_dword s16, s[4:5], 0x10
	v_mov_b32_e32 v1, 0
	s_load_dwordx2 s[12:13], s[4:5], 0x18
	s_waitcnt lgkmcnt(0)
	s_and_b32 s0, s0, 0xffff
	s_mul_i32 s6, s6, s0
	v_add_u32_e32 v0, s6, v0
	v_lshlrev_b64 v[0:1], 4, v[0:1]
	v_mov_b32_e32 v2, s9
	v_add_co_u32_e32 v4, vcc, s8, v0
	v_addc_co_u32_e32 v5, vcc, v2, v1, vcc
	global_load_dword v6, v[4:5], off
	global_load_dwordx2 v[2:3], v[4:5], off offset:8
	v_mbcnt_lo_u32_b32 v4, -1, 0
	v_mbcnt_hi_u32_b32 v4, -1, v4
	v_and_b32_e32 v5, 15, v4
	v_cmp_ne_u32_e32 vcc, 0, v5
	v_cmp_lt_u32_e64 s[0:1], 1, v5
	v_cmp_lt_u32_e64 s[2:3], 3, v5
	;; [unrolled: 1-line block ×3, first 2 shown]
	v_and_b32_e32 v5, 16, v4
	v_cmp_ne_u32_e64 s[6:7], 0, v5
	v_add_u32_e32 v5, -1, v4
	v_and_b32_e32 v7, 0x60, v4
	v_cmp_lt_i32_e64 s[8:9], v5, v7
	v_cndmask_b32_e64 v5, v5, v4, s[8:9]
	v_and_b32_e32 v4, 31, v4
	v_lshlrev_b32_e32 v7, 2, v5
	v_cmp_eq_u32_e64 s[8:9], 0, v4
	s_movk_i32 s17, 0x64
	s_branch .LBB91_2
.LBB91_1:                               ;   in Loop: Header=BB91_2 Depth=1
	s_or_b64 exec, exec, s[14:15]
	v_add_f64 v[2:3], s[12:13], v[2:3]
	v_add_u32_e32 v4, s16, v6
	ds_bpermute_b32 v4, v7, v4
	v_mov_b32_e32 v5, s16
	v_mov_b32_e32 v8, s13
	;; [unrolled: 1-line block ×3, first 2 shown]
	s_add_i32 s17, s17, -1
	s_cmp_lg_u32 s17, 0
	ds_bpermute_b32 v3, v7, v3
	ds_bpermute_b32 v2, v7, v2
	s_waitcnt lgkmcnt(2)
	v_cndmask_b32_e64 v6, v4, v5, s[8:9]
	s_waitcnt lgkmcnt(1)
	v_cndmask_b32_e64 v3, v3, v8, s[8:9]
	s_waitcnt lgkmcnt(0)
	v_cndmask_b32_e64 v2, v2, v9, s[8:9]
	s_cbranch_scc0 .LBB91_12
.LBB91_2:                               ; =>This Inner Loop Header: Depth=1
	s_waitcnt vmcnt(1)
	v_mov_b32_dpp v8, v6 row_shr:1 row_mask:0xf bank_mask:0xf
	s_waitcnt vmcnt(0)
	v_mov_b32_dpp v4, v2 row_shr:1 row_mask:0xf bank_mask:0xf
	v_mov_b32_dpp v5, v3 row_shr:1 row_mask:0xf bank_mask:0xf
	s_and_saveexec_b64 s[14:15], vcc
; %bb.3:                                ;   in Loop: Header=BB91_2 Depth=1
	v_add_f64 v[2:3], v[2:3], v[4:5]
	v_add_u32_e32 v6, v8, v6
; %bb.4:                                ;   in Loop: Header=BB91_2 Depth=1
	s_or_b64 exec, exec, s[14:15]
	s_nop 0
	v_mov_b32_dpp v8, v6 row_shr:2 row_mask:0xf bank_mask:0xf
	v_mov_b32_dpp v4, v2 row_shr:2 row_mask:0xf bank_mask:0xf
	v_mov_b32_dpp v5, v3 row_shr:2 row_mask:0xf bank_mask:0xf
	s_and_saveexec_b64 s[14:15], s[0:1]
; %bb.5:                                ;   in Loop: Header=BB91_2 Depth=1
	v_add_f64 v[2:3], v[2:3], v[4:5]
	v_add_u32_e32 v6, v8, v6
; %bb.6:                                ;   in Loop: Header=BB91_2 Depth=1
	s_or_b64 exec, exec, s[14:15]
	s_nop 0
	v_mov_b32_dpp v8, v6 row_shr:4 row_mask:0xf bank_mask:0xf
	v_mov_b32_dpp v4, v2 row_shr:4 row_mask:0xf bank_mask:0xf
	v_mov_b32_dpp v5, v3 row_shr:4 row_mask:0xf bank_mask:0xf
	s_and_saveexec_b64 s[14:15], s[2:3]
	;; [unrolled: 10-line block ×3, first 2 shown]
; %bb.9:                                ;   in Loop: Header=BB91_2 Depth=1
	v_add_f64 v[2:3], v[2:3], v[4:5]
	v_add_u32_e32 v6, v8, v6
; %bb.10:                               ;   in Loop: Header=BB91_2 Depth=1
	s_or_b64 exec, exec, s[14:15]
	s_nop 0
	v_mov_b32_dpp v8, v6 row_bcast:15 row_mask:0xf bank_mask:0xf
	v_mov_b32_dpp v4, v2 row_bcast:15 row_mask:0xf bank_mask:0xf
	;; [unrolled: 1-line block ×3, first 2 shown]
	s_and_saveexec_b64 s[14:15], s[6:7]
	s_cbranch_execz .LBB91_1
; %bb.11:                               ;   in Loop: Header=BB91_2 Depth=1
	v_add_f64 v[2:3], v[2:3], v[4:5]
	v_add_u32_e32 v6, v8, v6
	s_branch .LBB91_1
.LBB91_12:
	v_mov_b32_e32 v4, s11
	v_add_co_u32_e32 v0, vcc, s10, v0
	v_addc_co_u32_e32 v1, vcc, v4, v1, vcc
	global_store_dword v[0:1], v6, off
	global_store_dwordx2 v[0:1], v[2:3], off offset:8
	s_endpgm
	.section	.rodata,"a",@progbits
	.p2align	6, 0x0
	.amdhsa_kernel _Z6kernelI14exclusive_scanN15benchmark_utils11custom_typeIidEELj256ELj32ELj100EEvPKT0_PS4_S4_
		.amdhsa_group_segment_fixed_size 0
		.amdhsa_private_segment_fixed_size 0
		.amdhsa_kernarg_size 288
		.amdhsa_user_sgpr_count 6
		.amdhsa_user_sgpr_private_segment_buffer 1
		.amdhsa_user_sgpr_dispatch_ptr 0
		.amdhsa_user_sgpr_queue_ptr 0
		.amdhsa_user_sgpr_kernarg_segment_ptr 1
		.amdhsa_user_sgpr_dispatch_id 0
		.amdhsa_user_sgpr_flat_scratch_init 0
		.amdhsa_user_sgpr_private_segment_size 0
		.amdhsa_uses_dynamic_stack 0
		.amdhsa_system_sgpr_private_segment_wavefront_offset 0
		.amdhsa_system_sgpr_workgroup_id_x 1
		.amdhsa_system_sgpr_workgroup_id_y 0
		.amdhsa_system_sgpr_workgroup_id_z 0
		.amdhsa_system_sgpr_workgroup_info 0
		.amdhsa_system_vgpr_workitem_id 0
		.amdhsa_next_free_vgpr 10
		.amdhsa_next_free_sgpr 18
		.amdhsa_reserve_vcc 1
		.amdhsa_reserve_flat_scratch 0
		.amdhsa_float_round_mode_32 0
		.amdhsa_float_round_mode_16_64 0
		.amdhsa_float_denorm_mode_32 3
		.amdhsa_float_denorm_mode_16_64 3
		.amdhsa_dx10_clamp 1
		.amdhsa_ieee_mode 1
		.amdhsa_fp16_overflow 0
		.amdhsa_exception_fp_ieee_invalid_op 0
		.amdhsa_exception_fp_denorm_src 0
		.amdhsa_exception_fp_ieee_div_zero 0
		.amdhsa_exception_fp_ieee_overflow 0
		.amdhsa_exception_fp_ieee_underflow 0
		.amdhsa_exception_fp_ieee_inexact 0
		.amdhsa_exception_int_div_zero 0
	.end_amdhsa_kernel
	.section	.text._Z6kernelI14exclusive_scanN15benchmark_utils11custom_typeIidEELj256ELj32ELj100EEvPKT0_PS4_S4_,"axG",@progbits,_Z6kernelI14exclusive_scanN15benchmark_utils11custom_typeIidEELj256ELj32ELj100EEvPKT0_PS4_S4_,comdat
.Lfunc_end91:
	.size	_Z6kernelI14exclusive_scanN15benchmark_utils11custom_typeIidEELj256ELj32ELj100EEvPKT0_PS4_S4_, .Lfunc_end91-_Z6kernelI14exclusive_scanN15benchmark_utils11custom_typeIidEELj256ELj32ELj100EEvPKT0_PS4_S4_
                                        ; -- End function
	.set _Z6kernelI14exclusive_scanN15benchmark_utils11custom_typeIidEELj256ELj32ELj100EEvPKT0_PS4_S4_.num_vgpr, 10
	.set _Z6kernelI14exclusive_scanN15benchmark_utils11custom_typeIidEELj256ELj32ELj100EEvPKT0_PS4_S4_.num_agpr, 0
	.set _Z6kernelI14exclusive_scanN15benchmark_utils11custom_typeIidEELj256ELj32ELj100EEvPKT0_PS4_S4_.numbered_sgpr, 18
	.set _Z6kernelI14exclusive_scanN15benchmark_utils11custom_typeIidEELj256ELj32ELj100EEvPKT0_PS4_S4_.num_named_barrier, 0
	.set _Z6kernelI14exclusive_scanN15benchmark_utils11custom_typeIidEELj256ELj32ELj100EEvPKT0_PS4_S4_.private_seg_size, 0
	.set _Z6kernelI14exclusive_scanN15benchmark_utils11custom_typeIidEELj256ELj32ELj100EEvPKT0_PS4_S4_.uses_vcc, 1
	.set _Z6kernelI14exclusive_scanN15benchmark_utils11custom_typeIidEELj256ELj32ELj100EEvPKT0_PS4_S4_.uses_flat_scratch, 0
	.set _Z6kernelI14exclusive_scanN15benchmark_utils11custom_typeIidEELj256ELj32ELj100EEvPKT0_PS4_S4_.has_dyn_sized_stack, 0
	.set _Z6kernelI14exclusive_scanN15benchmark_utils11custom_typeIidEELj256ELj32ELj100EEvPKT0_PS4_S4_.has_recursion, 0
	.set _Z6kernelI14exclusive_scanN15benchmark_utils11custom_typeIidEELj256ELj32ELj100EEvPKT0_PS4_S4_.has_indirect_call, 0
	.section	.AMDGPU.csdata,"",@progbits
; Kernel info:
; codeLenInByte = 584
; TotalNumSgprs: 22
; NumVgprs: 10
; ScratchSize: 0
; MemoryBound: 0
; FloatMode: 240
; IeeeMode: 1
; LDSByteSize: 0 bytes/workgroup (compile time only)
; SGPRBlocks: 2
; VGPRBlocks: 2
; NumSGPRsForWavesPerEU: 22
; NumVGPRsForWavesPerEU: 10
; Occupancy: 10
; WaveLimiterHint : 0
; COMPUTE_PGM_RSRC2:SCRATCH_EN: 0
; COMPUTE_PGM_RSRC2:USER_SGPR: 6
; COMPUTE_PGM_RSRC2:TRAP_HANDLER: 0
; COMPUTE_PGM_RSRC2:TGID_X_EN: 1
; COMPUTE_PGM_RSRC2:TGID_Y_EN: 0
; COMPUTE_PGM_RSRC2:TGID_Z_EN: 0
; COMPUTE_PGM_RSRC2:TIDIG_COMP_CNT: 0
	.section	.text._Z6kernelI14exclusive_scanN15benchmark_utils11custom_typeIidEELj63ELj63ELj100EEvPKT0_PS4_S4_,"axG",@progbits,_Z6kernelI14exclusive_scanN15benchmark_utils11custom_typeIidEELj63ELj63ELj100EEvPKT0_PS4_S4_,comdat
	.protected	_Z6kernelI14exclusive_scanN15benchmark_utils11custom_typeIidEELj63ELj63ELj100EEvPKT0_PS4_S4_ ; -- Begin function _Z6kernelI14exclusive_scanN15benchmark_utils11custom_typeIidEELj63ELj63ELj100EEvPKT0_PS4_S4_
	.globl	_Z6kernelI14exclusive_scanN15benchmark_utils11custom_typeIidEELj63ELj63ELj100EEvPKT0_PS4_S4_
	.p2align	8
	.type	_Z6kernelI14exclusive_scanN15benchmark_utils11custom_typeIidEELj63ELj63ELj100EEvPKT0_PS4_S4_,@function
_Z6kernelI14exclusive_scanN15benchmark_utils11custom_typeIidEELj63ELj63ELj100EEvPKT0_PS4_S4_: ; @_Z6kernelI14exclusive_scanN15benchmark_utils11custom_typeIidEELj63ELj63ELj100EEvPKT0_PS4_S4_
; %bb.0:
	s_load_dword s0, s[4:5], 0x2c
	s_load_dwordx4 s[8:11], s[4:5], 0x0
	s_load_dword s16, s[4:5], 0x10
	v_mov_b32_e32 v1, 0
	s_load_dwordx2 s[12:13], s[4:5], 0x18
	s_waitcnt lgkmcnt(0)
	s_and_b32 s0, s0, 0xffff
	s_mul_i32 s6, s6, s0
	v_add_u32_e32 v0, s6, v0
	v_lshlrev_b64 v[0:1], 4, v[0:1]
	v_mov_b32_e32 v2, s9
	v_add_co_u32_e32 v5, vcc, s8, v0
	v_addc_co_u32_e32 v6, vcc, v2, v1, vcc
	global_load_dword v4, v[5:6], off
	global_load_dwordx2 v[2:3], v[5:6], off offset:8
	v_mbcnt_lo_u32_b32 v5, -1, 0
	v_mbcnt_hi_u32_b32 v5, -1, v5
	s_mov_b32 s0, 0x4104105
	v_mul_hi_u32 v6, v5, s0
	s_movk_i32 s17, 0x64
	v_mul_u32_u24_e32 v6, 63, v6
	v_sub_u32_e32 v6, v5, v6
	v_lshlrev_b32_e32 v5, 4, v6
	v_cmp_ne_u32_e32 vcc, 0, v6
	v_cmp_lt_u32_e64 s[0:1], 1, v6
	v_cmp_lt_u32_e64 s[2:3], 3, v6
	;; [unrolled: 1-line block ×5, first 2 shown]
	v_add_u32_e32 v6, -16, v5
	v_add_u32_e32 v7, -8, v5
	v_subrev_u32_e32 v8, 32, v5
	v_subrev_u32_e32 v9, 24, v5
	;; [unrolled: 1-line block ×4, first 2 shown]
	v_add_u32_e32 v12, 0xffffff80, v5
	v_add_u32_e32 v13, 0xffffff88, v5
	;; [unrolled: 1-line block ×6, first 2 shown]
	s_branch .LBB92_2
.LBB92_1:                               ;   in Loop: Header=BB92_2 Depth=1
	s_or_b64 exec, exec, s[14:15]
	s_add_i32 s17, s17, -1
	s_cmp_lg_u32 s17, 0
	s_cbranch_scc0 .LBB92_28
.LBB92_2:                               ; =>This Inner Loop Header: Depth=1
	s_waitcnt vmcnt(1)
	ds_write_b32 v5, v4
	s_waitcnt vmcnt(0)
	ds_write_b64 v5, v[2:3] offset:8
	; wave barrier
	s_and_saveexec_b64 s[14:15], vcc
	s_cbranch_execz .LBB92_4
; %bb.3:                                ;   in Loop: Header=BB92_2 Depth=1
	ds_read_b64 v[18:19], v7
	s_waitcnt lgkmcnt(0)
	v_add_f64 v[2:3], v[2:3], v[18:19]
	ds_read_b32 v18, v6
	s_waitcnt lgkmcnt(0)
	v_add_u32_e32 v4, v18, v4
.LBB92_4:                               ;   in Loop: Header=BB92_2 Depth=1
	s_or_b64 exec, exec, s[14:15]
	; wave barrier
	s_and_saveexec_b64 s[14:15], vcc
	s_cbranch_execz .LBB92_6
; %bb.5:                                ;   in Loop: Header=BB92_2 Depth=1
	ds_write_b32 v5, v4
	ds_write_b64 v5, v[2:3] offset:8
.LBB92_6:                               ;   in Loop: Header=BB92_2 Depth=1
	s_or_b64 exec, exec, s[14:15]
	; wave barrier
	s_and_saveexec_b64 s[14:15], s[0:1]
	s_cbranch_execz .LBB92_8
; %bb.7:                                ;   in Loop: Header=BB92_2 Depth=1
	ds_read_b64 v[18:19], v9
	s_waitcnt lgkmcnt(0)
	v_add_f64 v[2:3], v[2:3], v[18:19]
	ds_read_b32 v18, v8
	s_waitcnt lgkmcnt(0)
	v_add_u32_e32 v4, v18, v4
.LBB92_8:                               ;   in Loop: Header=BB92_2 Depth=1
	s_or_b64 exec, exec, s[14:15]
	; wave barrier
	s_and_saveexec_b64 s[14:15], s[0:1]
	s_cbranch_execz .LBB92_10
; %bb.9:                                ;   in Loop: Header=BB92_2 Depth=1
	ds_write_b32 v5, v4
	ds_write_b64 v5, v[2:3] offset:8
.LBB92_10:                              ;   in Loop: Header=BB92_2 Depth=1
	s_or_b64 exec, exec, s[14:15]
	; wave barrier
	s_and_saveexec_b64 s[14:15], s[2:3]
	s_cbranch_execz .LBB92_12
; %bb.11:                               ;   in Loop: Header=BB92_2 Depth=1
	ds_read_b64 v[18:19], v11
	s_waitcnt lgkmcnt(0)
	v_add_f64 v[2:3], v[2:3], v[18:19]
	ds_read_b32 v18, v10
	s_waitcnt lgkmcnt(0)
	v_add_u32_e32 v4, v18, v4
.LBB92_12:                              ;   in Loop: Header=BB92_2 Depth=1
	s_or_b64 exec, exec, s[14:15]
	; wave barrier
	s_and_saveexec_b64 s[14:15], s[2:3]
	s_cbranch_execz .LBB92_14
; %bb.13:                               ;   in Loop: Header=BB92_2 Depth=1
	ds_write_b32 v5, v4
	ds_write_b64 v5, v[2:3] offset:8
.LBB92_14:                              ;   in Loop: Header=BB92_2 Depth=1
	s_or_b64 exec, exec, s[14:15]
	; wave barrier
	s_and_saveexec_b64 s[14:15], s[4:5]
	s_cbranch_execz .LBB92_16
; %bb.15:                               ;   in Loop: Header=BB92_2 Depth=1
	ds_read_b64 v[18:19], v13
	s_waitcnt lgkmcnt(0)
	v_add_f64 v[2:3], v[2:3], v[18:19]
	ds_read_b32 v18, v12
	s_waitcnt lgkmcnt(0)
	v_add_u32_e32 v4, v18, v4
.LBB92_16:                              ;   in Loop: Header=BB92_2 Depth=1
	s_or_b64 exec, exec, s[14:15]
	; wave barrier
	s_and_saveexec_b64 s[14:15], s[4:5]
	s_cbranch_execz .LBB92_18
; %bb.17:                               ;   in Loop: Header=BB92_2 Depth=1
	ds_write_b32 v5, v4
	ds_write_b64 v5, v[2:3] offset:8
.LBB92_18:                              ;   in Loop: Header=BB92_2 Depth=1
	;; [unrolled: 20-line block ×4, first 2 shown]
	s_or_b64 exec, exec, s[14:15]
	v_mov_b32_e32 v2, s12
	v_mov_b32_e32 v4, s16
	;; [unrolled: 1-line block ×3, first 2 shown]
	; wave barrier
	s_and_saveexec_b64 s[14:15], vcc
	s_cbranch_execz .LBB92_1
; %bb.27:                               ;   in Loop: Header=BB92_2 Depth=1
	ds_read_b64 v[2:3], v7
	ds_read_b32 v4, v6
	s_waitcnt lgkmcnt(1)
	v_add_f64 v[2:3], s[12:13], v[2:3]
	s_waitcnt lgkmcnt(0)
	v_add_u32_e32 v4, s16, v4
	s_branch .LBB92_1
.LBB92_28:
	v_mov_b32_e32 v5, s11
	v_add_co_u32_e32 v0, vcc, s10, v0
	v_addc_co_u32_e32 v1, vcc, v5, v1, vcc
	global_store_dword v[0:1], v4, off
	global_store_dwordx2 v[0:1], v[2:3], off offset:8
	s_endpgm
	.section	.rodata,"a",@progbits
	.p2align	6, 0x0
	.amdhsa_kernel _Z6kernelI14exclusive_scanN15benchmark_utils11custom_typeIidEELj63ELj63ELj100EEvPKT0_PS4_S4_
		.amdhsa_group_segment_fixed_size 1008
		.amdhsa_private_segment_fixed_size 0
		.amdhsa_kernarg_size 288
		.amdhsa_user_sgpr_count 6
		.amdhsa_user_sgpr_private_segment_buffer 1
		.amdhsa_user_sgpr_dispatch_ptr 0
		.amdhsa_user_sgpr_queue_ptr 0
		.amdhsa_user_sgpr_kernarg_segment_ptr 1
		.amdhsa_user_sgpr_dispatch_id 0
		.amdhsa_user_sgpr_flat_scratch_init 0
		.amdhsa_user_sgpr_private_segment_size 0
		.amdhsa_uses_dynamic_stack 0
		.amdhsa_system_sgpr_private_segment_wavefront_offset 0
		.amdhsa_system_sgpr_workgroup_id_x 1
		.amdhsa_system_sgpr_workgroup_id_y 0
		.amdhsa_system_sgpr_workgroup_id_z 0
		.amdhsa_system_sgpr_workgroup_info 0
		.amdhsa_system_vgpr_workitem_id 0
		.amdhsa_next_free_vgpr 20
		.amdhsa_next_free_sgpr 18
		.amdhsa_reserve_vcc 1
		.amdhsa_reserve_flat_scratch 0
		.amdhsa_float_round_mode_32 0
		.amdhsa_float_round_mode_16_64 0
		.amdhsa_float_denorm_mode_32 3
		.amdhsa_float_denorm_mode_16_64 3
		.amdhsa_dx10_clamp 1
		.amdhsa_ieee_mode 1
		.amdhsa_fp16_overflow 0
		.amdhsa_exception_fp_ieee_invalid_op 0
		.amdhsa_exception_fp_denorm_src 0
		.amdhsa_exception_fp_ieee_div_zero 0
		.amdhsa_exception_fp_ieee_overflow 0
		.amdhsa_exception_fp_ieee_underflow 0
		.amdhsa_exception_fp_ieee_inexact 0
		.amdhsa_exception_int_div_zero 0
	.end_amdhsa_kernel
	.section	.text._Z6kernelI14exclusive_scanN15benchmark_utils11custom_typeIidEELj63ELj63ELj100EEvPKT0_PS4_S4_,"axG",@progbits,_Z6kernelI14exclusive_scanN15benchmark_utils11custom_typeIidEELj63ELj63ELj100EEvPKT0_PS4_S4_,comdat
.Lfunc_end92:
	.size	_Z6kernelI14exclusive_scanN15benchmark_utils11custom_typeIidEELj63ELj63ELj100EEvPKT0_PS4_S4_, .Lfunc_end92-_Z6kernelI14exclusive_scanN15benchmark_utils11custom_typeIidEELj63ELj63ELj100EEvPKT0_PS4_S4_
                                        ; -- End function
	.set _Z6kernelI14exclusive_scanN15benchmark_utils11custom_typeIidEELj63ELj63ELj100EEvPKT0_PS4_S4_.num_vgpr, 20
	.set _Z6kernelI14exclusive_scanN15benchmark_utils11custom_typeIidEELj63ELj63ELj100EEvPKT0_PS4_S4_.num_agpr, 0
	.set _Z6kernelI14exclusive_scanN15benchmark_utils11custom_typeIidEELj63ELj63ELj100EEvPKT0_PS4_S4_.numbered_sgpr, 18
	.set _Z6kernelI14exclusive_scanN15benchmark_utils11custom_typeIidEELj63ELj63ELj100EEvPKT0_PS4_S4_.num_named_barrier, 0
	.set _Z6kernelI14exclusive_scanN15benchmark_utils11custom_typeIidEELj63ELj63ELj100EEvPKT0_PS4_S4_.private_seg_size, 0
	.set _Z6kernelI14exclusive_scanN15benchmark_utils11custom_typeIidEELj63ELj63ELj100EEvPKT0_PS4_S4_.uses_vcc, 1
	.set _Z6kernelI14exclusive_scanN15benchmark_utils11custom_typeIidEELj63ELj63ELj100EEvPKT0_PS4_S4_.uses_flat_scratch, 0
	.set _Z6kernelI14exclusive_scanN15benchmark_utils11custom_typeIidEELj63ELj63ELj100EEvPKT0_PS4_S4_.has_dyn_sized_stack, 0
	.set _Z6kernelI14exclusive_scanN15benchmark_utils11custom_typeIidEELj63ELj63ELj100EEvPKT0_PS4_S4_.has_recursion, 0
	.set _Z6kernelI14exclusive_scanN15benchmark_utils11custom_typeIidEELj63ELj63ELj100EEvPKT0_PS4_S4_.has_indirect_call, 0
	.section	.AMDGPU.csdata,"",@progbits
; Kernel info:
; codeLenInByte = 848
; TotalNumSgprs: 22
; NumVgprs: 20
; ScratchSize: 0
; MemoryBound: 0
; FloatMode: 240
; IeeeMode: 1
; LDSByteSize: 1008 bytes/workgroup (compile time only)
; SGPRBlocks: 2
; VGPRBlocks: 4
; NumSGPRsForWavesPerEU: 22
; NumVGPRsForWavesPerEU: 20
; Occupancy: 10
; WaveLimiterHint : 0
; COMPUTE_PGM_RSRC2:SCRATCH_EN: 0
; COMPUTE_PGM_RSRC2:USER_SGPR: 6
; COMPUTE_PGM_RSRC2:TRAP_HANDLER: 0
; COMPUTE_PGM_RSRC2:TGID_X_EN: 1
; COMPUTE_PGM_RSRC2:TGID_Y_EN: 0
; COMPUTE_PGM_RSRC2:TGID_Z_EN: 0
; COMPUTE_PGM_RSRC2:TIDIG_COMP_CNT: 0
	.section	.text._Z6kernelI14exclusive_scanN15benchmark_utils11custom_typeIidEELj64ELj64ELj100EEvPKT0_PS4_S4_,"axG",@progbits,_Z6kernelI14exclusive_scanN15benchmark_utils11custom_typeIidEELj64ELj64ELj100EEvPKT0_PS4_S4_,comdat
	.protected	_Z6kernelI14exclusive_scanN15benchmark_utils11custom_typeIidEELj64ELj64ELj100EEvPKT0_PS4_S4_ ; -- Begin function _Z6kernelI14exclusive_scanN15benchmark_utils11custom_typeIidEELj64ELj64ELj100EEvPKT0_PS4_S4_
	.globl	_Z6kernelI14exclusive_scanN15benchmark_utils11custom_typeIidEELj64ELj64ELj100EEvPKT0_PS4_S4_
	.p2align	8
	.type	_Z6kernelI14exclusive_scanN15benchmark_utils11custom_typeIidEELj64ELj64ELj100EEvPKT0_PS4_S4_,@function
_Z6kernelI14exclusive_scanN15benchmark_utils11custom_typeIidEELj64ELj64ELj100EEvPKT0_PS4_S4_: ; @_Z6kernelI14exclusive_scanN15benchmark_utils11custom_typeIidEELj64ELj64ELj100EEvPKT0_PS4_S4_
; %bb.0:
	s_load_dword s0, s[4:5], 0x2c
	s_load_dwordx4 s[12:15], s[4:5], 0x0
	s_load_dword s18, s[4:5], 0x10
	v_mov_b32_e32 v1, 0
	s_load_dwordx2 s[16:17], s[4:5], 0x18
	s_waitcnt lgkmcnt(0)
	s_and_b32 s0, s0, 0xffff
	s_mul_i32 s6, s6, s0
	v_add_u32_e32 v0, s6, v0
	v_lshlrev_b64 v[0:1], 4, v[0:1]
	v_mov_b32_e32 v2, s13
	v_add_co_u32_e32 v4, vcc, s12, v0
	v_addc_co_u32_e32 v5, vcc, v2, v1, vcc
	global_load_dword v6, v[4:5], off
	global_load_dwordx2 v[2:3], v[4:5], off offset:8
	v_mbcnt_lo_u32_b32 v4, -1, 0
	v_mbcnt_hi_u32_b32 v4, -1, v4
	v_and_b32_e32 v5, 15, v4
	v_cmp_ne_u32_e32 vcc, 0, v5
	v_cmp_lt_u32_e64 s[0:1], 1, v5
	v_cmp_lt_u32_e64 s[2:3], 3, v5
	;; [unrolled: 1-line block ×3, first 2 shown]
	v_and_b32_e32 v5, 16, v4
	v_cmp_ne_u32_e64 s[6:7], 0, v5
	v_subrev_co_u32_e64 v5, s[10:11], 1, v4
	v_and_b32_e32 v7, 64, v4
	v_cmp_lt_i32_e64 s[12:13], v5, v7
	v_cmp_lt_u32_e64 s[8:9], 31, v4
	v_cndmask_b32_e64 v4, v5, v4, s[12:13]
	v_lshlrev_b32_e32 v7, 2, v4
	s_movk_i32 s19, 0x64
	s_branch .LBB93_2
.LBB93_1:                               ;   in Loop: Header=BB93_2 Depth=1
	s_or_b64 exec, exec, s[12:13]
	v_add_f64 v[2:3], s[16:17], v[2:3]
	v_add_u32_e32 v4, s18, v6
	ds_bpermute_b32 v4, v7, v4
	v_mov_b32_e32 v5, s18
	v_mov_b32_e32 v8, s17
	;; [unrolled: 1-line block ×3, first 2 shown]
	s_add_i32 s19, s19, -1
	s_cmp_lg_u32 s19, 0
	ds_bpermute_b32 v3, v7, v3
	ds_bpermute_b32 v2, v7, v2
	s_waitcnt lgkmcnt(2)
	v_cndmask_b32_e64 v6, v4, v5, s[10:11]
	s_waitcnt lgkmcnt(1)
	v_cndmask_b32_e64 v3, v3, v8, s[10:11]
	;; [unrolled: 2-line block ×3, first 2 shown]
	s_cbranch_scc0 .LBB93_14
.LBB93_2:                               ; =>This Inner Loop Header: Depth=1
	s_waitcnt vmcnt(1)
	v_mov_b32_dpp v8, v6 row_shr:1 row_mask:0xf bank_mask:0xf
	s_waitcnt vmcnt(0)
	v_mov_b32_dpp v4, v2 row_shr:1 row_mask:0xf bank_mask:0xf
	v_mov_b32_dpp v5, v3 row_shr:1 row_mask:0xf bank_mask:0xf
	s_and_saveexec_b64 s[12:13], vcc
; %bb.3:                                ;   in Loop: Header=BB93_2 Depth=1
	v_add_f64 v[2:3], v[2:3], v[4:5]
	v_add_u32_e32 v6, v8, v6
; %bb.4:                                ;   in Loop: Header=BB93_2 Depth=1
	s_or_b64 exec, exec, s[12:13]
	s_nop 0
	v_mov_b32_dpp v8, v6 row_shr:2 row_mask:0xf bank_mask:0xf
	v_mov_b32_dpp v4, v2 row_shr:2 row_mask:0xf bank_mask:0xf
	v_mov_b32_dpp v5, v3 row_shr:2 row_mask:0xf bank_mask:0xf
	s_and_saveexec_b64 s[12:13], s[0:1]
; %bb.5:                                ;   in Loop: Header=BB93_2 Depth=1
	v_add_f64 v[2:3], v[2:3], v[4:5]
	v_add_u32_e32 v6, v8, v6
; %bb.6:                                ;   in Loop: Header=BB93_2 Depth=1
	s_or_b64 exec, exec, s[12:13]
	s_nop 0
	v_mov_b32_dpp v8, v6 row_shr:4 row_mask:0xf bank_mask:0xf
	v_mov_b32_dpp v4, v2 row_shr:4 row_mask:0xf bank_mask:0xf
	v_mov_b32_dpp v5, v3 row_shr:4 row_mask:0xf bank_mask:0xf
	s_and_saveexec_b64 s[12:13], s[2:3]
	;; [unrolled: 10-line block ×3, first 2 shown]
; %bb.9:                                ;   in Loop: Header=BB93_2 Depth=1
	v_add_f64 v[2:3], v[2:3], v[4:5]
	v_add_u32_e32 v6, v8, v6
; %bb.10:                               ;   in Loop: Header=BB93_2 Depth=1
	s_or_b64 exec, exec, s[12:13]
	s_nop 0
	v_mov_b32_dpp v8, v6 row_bcast:15 row_mask:0xf bank_mask:0xf
	v_mov_b32_dpp v4, v2 row_bcast:15 row_mask:0xf bank_mask:0xf
	v_mov_b32_dpp v5, v3 row_bcast:15 row_mask:0xf bank_mask:0xf
	s_and_saveexec_b64 s[12:13], s[6:7]
; %bb.11:                               ;   in Loop: Header=BB93_2 Depth=1
	v_add_f64 v[2:3], v[2:3], v[4:5]
	v_add_u32_e32 v6, v8, v6
; %bb.12:                               ;   in Loop: Header=BB93_2 Depth=1
	s_or_b64 exec, exec, s[12:13]
	s_nop 0
	v_mov_b32_dpp v8, v6 row_bcast:31 row_mask:0xf bank_mask:0xf
	v_mov_b32_dpp v4, v2 row_bcast:31 row_mask:0xf bank_mask:0xf
	;; [unrolled: 1-line block ×3, first 2 shown]
	s_and_saveexec_b64 s[12:13], s[8:9]
	s_cbranch_execz .LBB93_1
; %bb.13:                               ;   in Loop: Header=BB93_2 Depth=1
	v_add_f64 v[2:3], v[2:3], v[4:5]
	v_add_u32_e32 v6, v8, v6
	s_branch .LBB93_1
.LBB93_14:
	v_mov_b32_e32 v4, s15
	v_add_co_u32_e32 v0, vcc, s14, v0
	v_addc_co_u32_e32 v1, vcc, v4, v1, vcc
	global_store_dword v[0:1], v6, off
	global_store_dwordx2 v[0:1], v[2:3], off offset:8
	s_endpgm
	.section	.rodata,"a",@progbits
	.p2align	6, 0x0
	.amdhsa_kernel _Z6kernelI14exclusive_scanN15benchmark_utils11custom_typeIidEELj64ELj64ELj100EEvPKT0_PS4_S4_
		.amdhsa_group_segment_fixed_size 0
		.amdhsa_private_segment_fixed_size 0
		.amdhsa_kernarg_size 288
		.amdhsa_user_sgpr_count 6
		.amdhsa_user_sgpr_private_segment_buffer 1
		.amdhsa_user_sgpr_dispatch_ptr 0
		.amdhsa_user_sgpr_queue_ptr 0
		.amdhsa_user_sgpr_kernarg_segment_ptr 1
		.amdhsa_user_sgpr_dispatch_id 0
		.amdhsa_user_sgpr_flat_scratch_init 0
		.amdhsa_user_sgpr_private_segment_size 0
		.amdhsa_uses_dynamic_stack 0
		.amdhsa_system_sgpr_private_segment_wavefront_offset 0
		.amdhsa_system_sgpr_workgroup_id_x 1
		.amdhsa_system_sgpr_workgroup_id_y 0
		.amdhsa_system_sgpr_workgroup_id_z 0
		.amdhsa_system_sgpr_workgroup_info 0
		.amdhsa_system_vgpr_workitem_id 0
		.amdhsa_next_free_vgpr 10
		.amdhsa_next_free_sgpr 20
		.amdhsa_reserve_vcc 1
		.amdhsa_reserve_flat_scratch 0
		.amdhsa_float_round_mode_32 0
		.amdhsa_float_round_mode_16_64 0
		.amdhsa_float_denorm_mode_32 3
		.amdhsa_float_denorm_mode_16_64 3
		.amdhsa_dx10_clamp 1
		.amdhsa_ieee_mode 1
		.amdhsa_fp16_overflow 0
		.amdhsa_exception_fp_ieee_invalid_op 0
		.amdhsa_exception_fp_denorm_src 0
		.amdhsa_exception_fp_ieee_div_zero 0
		.amdhsa_exception_fp_ieee_overflow 0
		.amdhsa_exception_fp_ieee_underflow 0
		.amdhsa_exception_fp_ieee_inexact 0
		.amdhsa_exception_int_div_zero 0
	.end_amdhsa_kernel
	.section	.text._Z6kernelI14exclusive_scanN15benchmark_utils11custom_typeIidEELj64ELj64ELj100EEvPKT0_PS4_S4_,"axG",@progbits,_Z6kernelI14exclusive_scanN15benchmark_utils11custom_typeIidEELj64ELj64ELj100EEvPKT0_PS4_S4_,comdat
.Lfunc_end93:
	.size	_Z6kernelI14exclusive_scanN15benchmark_utils11custom_typeIidEELj64ELj64ELj100EEvPKT0_PS4_S4_, .Lfunc_end93-_Z6kernelI14exclusive_scanN15benchmark_utils11custom_typeIidEELj64ELj64ELj100EEvPKT0_PS4_S4_
                                        ; -- End function
	.set _Z6kernelI14exclusive_scanN15benchmark_utils11custom_typeIidEELj64ELj64ELj100EEvPKT0_PS4_S4_.num_vgpr, 10
	.set _Z6kernelI14exclusive_scanN15benchmark_utils11custom_typeIidEELj64ELj64ELj100EEvPKT0_PS4_S4_.num_agpr, 0
	.set _Z6kernelI14exclusive_scanN15benchmark_utils11custom_typeIidEELj64ELj64ELj100EEvPKT0_PS4_S4_.numbered_sgpr, 20
	.set _Z6kernelI14exclusive_scanN15benchmark_utils11custom_typeIidEELj64ELj64ELj100EEvPKT0_PS4_S4_.num_named_barrier, 0
	.set _Z6kernelI14exclusive_scanN15benchmark_utils11custom_typeIidEELj64ELj64ELj100EEvPKT0_PS4_S4_.private_seg_size, 0
	.set _Z6kernelI14exclusive_scanN15benchmark_utils11custom_typeIidEELj64ELj64ELj100EEvPKT0_PS4_S4_.uses_vcc, 1
	.set _Z6kernelI14exclusive_scanN15benchmark_utils11custom_typeIidEELj64ELj64ELj100EEvPKT0_PS4_S4_.uses_flat_scratch, 0
	.set _Z6kernelI14exclusive_scanN15benchmark_utils11custom_typeIidEELj64ELj64ELj100EEvPKT0_PS4_S4_.has_dyn_sized_stack, 0
	.set _Z6kernelI14exclusive_scanN15benchmark_utils11custom_typeIidEELj64ELj64ELj100EEvPKT0_PS4_S4_.has_recursion, 0
	.set _Z6kernelI14exclusive_scanN15benchmark_utils11custom_typeIidEELj64ELj64ELj100EEvPKT0_PS4_S4_.has_indirect_call, 0
	.section	.AMDGPU.csdata,"",@progbits
; Kernel info:
; codeLenInByte = 628
; TotalNumSgprs: 24
; NumVgprs: 10
; ScratchSize: 0
; MemoryBound: 0
; FloatMode: 240
; IeeeMode: 1
; LDSByteSize: 0 bytes/workgroup (compile time only)
; SGPRBlocks: 2
; VGPRBlocks: 2
; NumSGPRsForWavesPerEU: 24
; NumVGPRsForWavesPerEU: 10
; Occupancy: 10
; WaveLimiterHint : 0
; COMPUTE_PGM_RSRC2:SCRATCH_EN: 0
; COMPUTE_PGM_RSRC2:USER_SGPR: 6
; COMPUTE_PGM_RSRC2:TRAP_HANDLER: 0
; COMPUTE_PGM_RSRC2:TGID_X_EN: 1
; COMPUTE_PGM_RSRC2:TGID_Y_EN: 0
; COMPUTE_PGM_RSRC2:TGID_Z_EN: 0
; COMPUTE_PGM_RSRC2:TIDIG_COMP_CNT: 0
	.section	.text._Z6kernelI14exclusive_scanN15benchmark_utils11custom_typeIidEELj128ELj64ELj100EEvPKT0_PS4_S4_,"axG",@progbits,_Z6kernelI14exclusive_scanN15benchmark_utils11custom_typeIidEELj128ELj64ELj100EEvPKT0_PS4_S4_,comdat
	.protected	_Z6kernelI14exclusive_scanN15benchmark_utils11custom_typeIidEELj128ELj64ELj100EEvPKT0_PS4_S4_ ; -- Begin function _Z6kernelI14exclusive_scanN15benchmark_utils11custom_typeIidEELj128ELj64ELj100EEvPKT0_PS4_S4_
	.globl	_Z6kernelI14exclusive_scanN15benchmark_utils11custom_typeIidEELj128ELj64ELj100EEvPKT0_PS4_S4_
	.p2align	8
	.type	_Z6kernelI14exclusive_scanN15benchmark_utils11custom_typeIidEELj128ELj64ELj100EEvPKT0_PS4_S4_,@function
_Z6kernelI14exclusive_scanN15benchmark_utils11custom_typeIidEELj128ELj64ELj100EEvPKT0_PS4_S4_: ; @_Z6kernelI14exclusive_scanN15benchmark_utils11custom_typeIidEELj128ELj64ELj100EEvPKT0_PS4_S4_
; %bb.0:
	s_load_dword s0, s[4:5], 0x2c
	s_load_dwordx4 s[12:15], s[4:5], 0x0
	s_load_dword s18, s[4:5], 0x10
	v_mov_b32_e32 v1, 0
	s_load_dwordx2 s[16:17], s[4:5], 0x18
	s_waitcnt lgkmcnt(0)
	s_and_b32 s0, s0, 0xffff
	s_mul_i32 s6, s6, s0
	v_add_u32_e32 v0, s6, v0
	v_lshlrev_b64 v[0:1], 4, v[0:1]
	v_mov_b32_e32 v2, s13
	v_add_co_u32_e32 v4, vcc, s12, v0
	v_addc_co_u32_e32 v5, vcc, v2, v1, vcc
	global_load_dword v6, v[4:5], off
	global_load_dwordx2 v[2:3], v[4:5], off offset:8
	v_mbcnt_lo_u32_b32 v4, -1, 0
	v_mbcnt_hi_u32_b32 v4, -1, v4
	v_and_b32_e32 v5, 15, v4
	v_cmp_ne_u32_e32 vcc, 0, v5
	v_cmp_lt_u32_e64 s[0:1], 1, v5
	v_cmp_lt_u32_e64 s[2:3], 3, v5
	;; [unrolled: 1-line block ×3, first 2 shown]
	v_and_b32_e32 v5, 16, v4
	v_cmp_ne_u32_e64 s[6:7], 0, v5
	v_subrev_co_u32_e64 v5, s[10:11], 1, v4
	v_and_b32_e32 v7, 64, v4
	v_cmp_lt_i32_e64 s[12:13], v5, v7
	v_cmp_lt_u32_e64 s[8:9], 31, v4
	v_cndmask_b32_e64 v4, v5, v4, s[12:13]
	v_lshlrev_b32_e32 v7, 2, v4
	s_movk_i32 s19, 0x64
	s_branch .LBB94_2
.LBB94_1:                               ;   in Loop: Header=BB94_2 Depth=1
	s_or_b64 exec, exec, s[12:13]
	v_add_f64 v[2:3], s[16:17], v[2:3]
	v_add_u32_e32 v4, s18, v6
	ds_bpermute_b32 v4, v7, v4
	v_mov_b32_e32 v5, s18
	v_mov_b32_e32 v8, s17
	;; [unrolled: 1-line block ×3, first 2 shown]
	s_add_i32 s19, s19, -1
	s_cmp_lg_u32 s19, 0
	ds_bpermute_b32 v3, v7, v3
	ds_bpermute_b32 v2, v7, v2
	s_waitcnt lgkmcnt(2)
	v_cndmask_b32_e64 v6, v4, v5, s[10:11]
	s_waitcnt lgkmcnt(1)
	v_cndmask_b32_e64 v3, v3, v8, s[10:11]
	;; [unrolled: 2-line block ×3, first 2 shown]
	s_cbranch_scc0 .LBB94_14
.LBB94_2:                               ; =>This Inner Loop Header: Depth=1
	s_waitcnt vmcnt(1)
	v_mov_b32_dpp v8, v6 row_shr:1 row_mask:0xf bank_mask:0xf
	s_waitcnt vmcnt(0)
	v_mov_b32_dpp v4, v2 row_shr:1 row_mask:0xf bank_mask:0xf
	v_mov_b32_dpp v5, v3 row_shr:1 row_mask:0xf bank_mask:0xf
	s_and_saveexec_b64 s[12:13], vcc
; %bb.3:                                ;   in Loop: Header=BB94_2 Depth=1
	v_add_f64 v[2:3], v[2:3], v[4:5]
	v_add_u32_e32 v6, v8, v6
; %bb.4:                                ;   in Loop: Header=BB94_2 Depth=1
	s_or_b64 exec, exec, s[12:13]
	s_nop 0
	v_mov_b32_dpp v8, v6 row_shr:2 row_mask:0xf bank_mask:0xf
	v_mov_b32_dpp v4, v2 row_shr:2 row_mask:0xf bank_mask:0xf
	v_mov_b32_dpp v5, v3 row_shr:2 row_mask:0xf bank_mask:0xf
	s_and_saveexec_b64 s[12:13], s[0:1]
; %bb.5:                                ;   in Loop: Header=BB94_2 Depth=1
	v_add_f64 v[2:3], v[2:3], v[4:5]
	v_add_u32_e32 v6, v8, v6
; %bb.6:                                ;   in Loop: Header=BB94_2 Depth=1
	s_or_b64 exec, exec, s[12:13]
	s_nop 0
	v_mov_b32_dpp v8, v6 row_shr:4 row_mask:0xf bank_mask:0xf
	v_mov_b32_dpp v4, v2 row_shr:4 row_mask:0xf bank_mask:0xf
	v_mov_b32_dpp v5, v3 row_shr:4 row_mask:0xf bank_mask:0xf
	s_and_saveexec_b64 s[12:13], s[2:3]
	;; [unrolled: 10-line block ×3, first 2 shown]
; %bb.9:                                ;   in Loop: Header=BB94_2 Depth=1
	v_add_f64 v[2:3], v[2:3], v[4:5]
	v_add_u32_e32 v6, v8, v6
; %bb.10:                               ;   in Loop: Header=BB94_2 Depth=1
	s_or_b64 exec, exec, s[12:13]
	s_nop 0
	v_mov_b32_dpp v8, v6 row_bcast:15 row_mask:0xf bank_mask:0xf
	v_mov_b32_dpp v4, v2 row_bcast:15 row_mask:0xf bank_mask:0xf
	;; [unrolled: 1-line block ×3, first 2 shown]
	s_and_saveexec_b64 s[12:13], s[6:7]
; %bb.11:                               ;   in Loop: Header=BB94_2 Depth=1
	v_add_f64 v[2:3], v[2:3], v[4:5]
	v_add_u32_e32 v6, v8, v6
; %bb.12:                               ;   in Loop: Header=BB94_2 Depth=1
	s_or_b64 exec, exec, s[12:13]
	s_nop 0
	v_mov_b32_dpp v8, v6 row_bcast:31 row_mask:0xf bank_mask:0xf
	v_mov_b32_dpp v4, v2 row_bcast:31 row_mask:0xf bank_mask:0xf
	;; [unrolled: 1-line block ×3, first 2 shown]
	s_and_saveexec_b64 s[12:13], s[8:9]
	s_cbranch_execz .LBB94_1
; %bb.13:                               ;   in Loop: Header=BB94_2 Depth=1
	v_add_f64 v[2:3], v[2:3], v[4:5]
	v_add_u32_e32 v6, v8, v6
	s_branch .LBB94_1
.LBB94_14:
	v_mov_b32_e32 v4, s15
	v_add_co_u32_e32 v0, vcc, s14, v0
	v_addc_co_u32_e32 v1, vcc, v4, v1, vcc
	global_store_dword v[0:1], v6, off
	global_store_dwordx2 v[0:1], v[2:3], off offset:8
	s_endpgm
	.section	.rodata,"a",@progbits
	.p2align	6, 0x0
	.amdhsa_kernel _Z6kernelI14exclusive_scanN15benchmark_utils11custom_typeIidEELj128ELj64ELj100EEvPKT0_PS4_S4_
		.amdhsa_group_segment_fixed_size 0
		.amdhsa_private_segment_fixed_size 0
		.amdhsa_kernarg_size 288
		.amdhsa_user_sgpr_count 6
		.amdhsa_user_sgpr_private_segment_buffer 1
		.amdhsa_user_sgpr_dispatch_ptr 0
		.amdhsa_user_sgpr_queue_ptr 0
		.amdhsa_user_sgpr_kernarg_segment_ptr 1
		.amdhsa_user_sgpr_dispatch_id 0
		.amdhsa_user_sgpr_flat_scratch_init 0
		.amdhsa_user_sgpr_private_segment_size 0
		.amdhsa_uses_dynamic_stack 0
		.amdhsa_system_sgpr_private_segment_wavefront_offset 0
		.amdhsa_system_sgpr_workgroup_id_x 1
		.amdhsa_system_sgpr_workgroup_id_y 0
		.amdhsa_system_sgpr_workgroup_id_z 0
		.amdhsa_system_sgpr_workgroup_info 0
		.amdhsa_system_vgpr_workitem_id 0
		.amdhsa_next_free_vgpr 10
		.amdhsa_next_free_sgpr 20
		.amdhsa_reserve_vcc 1
		.amdhsa_reserve_flat_scratch 0
		.amdhsa_float_round_mode_32 0
		.amdhsa_float_round_mode_16_64 0
		.amdhsa_float_denorm_mode_32 3
		.amdhsa_float_denorm_mode_16_64 3
		.amdhsa_dx10_clamp 1
		.amdhsa_ieee_mode 1
		.amdhsa_fp16_overflow 0
		.amdhsa_exception_fp_ieee_invalid_op 0
		.amdhsa_exception_fp_denorm_src 0
		.amdhsa_exception_fp_ieee_div_zero 0
		.amdhsa_exception_fp_ieee_overflow 0
		.amdhsa_exception_fp_ieee_underflow 0
		.amdhsa_exception_fp_ieee_inexact 0
		.amdhsa_exception_int_div_zero 0
	.end_amdhsa_kernel
	.section	.text._Z6kernelI14exclusive_scanN15benchmark_utils11custom_typeIidEELj128ELj64ELj100EEvPKT0_PS4_S4_,"axG",@progbits,_Z6kernelI14exclusive_scanN15benchmark_utils11custom_typeIidEELj128ELj64ELj100EEvPKT0_PS4_S4_,comdat
.Lfunc_end94:
	.size	_Z6kernelI14exclusive_scanN15benchmark_utils11custom_typeIidEELj128ELj64ELj100EEvPKT0_PS4_S4_, .Lfunc_end94-_Z6kernelI14exclusive_scanN15benchmark_utils11custom_typeIidEELj128ELj64ELj100EEvPKT0_PS4_S4_
                                        ; -- End function
	.set _Z6kernelI14exclusive_scanN15benchmark_utils11custom_typeIidEELj128ELj64ELj100EEvPKT0_PS4_S4_.num_vgpr, 10
	.set _Z6kernelI14exclusive_scanN15benchmark_utils11custom_typeIidEELj128ELj64ELj100EEvPKT0_PS4_S4_.num_agpr, 0
	.set _Z6kernelI14exclusive_scanN15benchmark_utils11custom_typeIidEELj128ELj64ELj100EEvPKT0_PS4_S4_.numbered_sgpr, 20
	.set _Z6kernelI14exclusive_scanN15benchmark_utils11custom_typeIidEELj128ELj64ELj100EEvPKT0_PS4_S4_.num_named_barrier, 0
	.set _Z6kernelI14exclusive_scanN15benchmark_utils11custom_typeIidEELj128ELj64ELj100EEvPKT0_PS4_S4_.private_seg_size, 0
	.set _Z6kernelI14exclusive_scanN15benchmark_utils11custom_typeIidEELj128ELj64ELj100EEvPKT0_PS4_S4_.uses_vcc, 1
	.set _Z6kernelI14exclusive_scanN15benchmark_utils11custom_typeIidEELj128ELj64ELj100EEvPKT0_PS4_S4_.uses_flat_scratch, 0
	.set _Z6kernelI14exclusive_scanN15benchmark_utils11custom_typeIidEELj128ELj64ELj100EEvPKT0_PS4_S4_.has_dyn_sized_stack, 0
	.set _Z6kernelI14exclusive_scanN15benchmark_utils11custom_typeIidEELj128ELj64ELj100EEvPKT0_PS4_S4_.has_recursion, 0
	.set _Z6kernelI14exclusive_scanN15benchmark_utils11custom_typeIidEELj128ELj64ELj100EEvPKT0_PS4_S4_.has_indirect_call, 0
	.section	.AMDGPU.csdata,"",@progbits
; Kernel info:
; codeLenInByte = 628
; TotalNumSgprs: 24
; NumVgprs: 10
; ScratchSize: 0
; MemoryBound: 0
; FloatMode: 240
; IeeeMode: 1
; LDSByteSize: 0 bytes/workgroup (compile time only)
; SGPRBlocks: 2
; VGPRBlocks: 2
; NumSGPRsForWavesPerEU: 24
; NumVGPRsForWavesPerEU: 10
; Occupancy: 10
; WaveLimiterHint : 0
; COMPUTE_PGM_RSRC2:SCRATCH_EN: 0
; COMPUTE_PGM_RSRC2:USER_SGPR: 6
; COMPUTE_PGM_RSRC2:TRAP_HANDLER: 0
; COMPUTE_PGM_RSRC2:TGID_X_EN: 1
; COMPUTE_PGM_RSRC2:TGID_Y_EN: 0
; COMPUTE_PGM_RSRC2:TGID_Z_EN: 0
; COMPUTE_PGM_RSRC2:TIDIG_COMP_CNT: 0
	.section	.text._Z6kernelI14exclusive_scanN15benchmark_utils11custom_typeIidEELj256ELj64ELj100EEvPKT0_PS4_S4_,"axG",@progbits,_Z6kernelI14exclusive_scanN15benchmark_utils11custom_typeIidEELj256ELj64ELj100EEvPKT0_PS4_S4_,comdat
	.protected	_Z6kernelI14exclusive_scanN15benchmark_utils11custom_typeIidEELj256ELj64ELj100EEvPKT0_PS4_S4_ ; -- Begin function _Z6kernelI14exclusive_scanN15benchmark_utils11custom_typeIidEELj256ELj64ELj100EEvPKT0_PS4_S4_
	.globl	_Z6kernelI14exclusive_scanN15benchmark_utils11custom_typeIidEELj256ELj64ELj100EEvPKT0_PS4_S4_
	.p2align	8
	.type	_Z6kernelI14exclusive_scanN15benchmark_utils11custom_typeIidEELj256ELj64ELj100EEvPKT0_PS4_S4_,@function
_Z6kernelI14exclusive_scanN15benchmark_utils11custom_typeIidEELj256ELj64ELj100EEvPKT0_PS4_S4_: ; @_Z6kernelI14exclusive_scanN15benchmark_utils11custom_typeIidEELj256ELj64ELj100EEvPKT0_PS4_S4_
; %bb.0:
	s_load_dword s0, s[4:5], 0x2c
	s_load_dwordx4 s[12:15], s[4:5], 0x0
	s_load_dword s18, s[4:5], 0x10
	v_mov_b32_e32 v1, 0
	s_load_dwordx2 s[16:17], s[4:5], 0x18
	s_waitcnt lgkmcnt(0)
	s_and_b32 s0, s0, 0xffff
	s_mul_i32 s6, s6, s0
	v_add_u32_e32 v0, s6, v0
	v_lshlrev_b64 v[0:1], 4, v[0:1]
	v_mov_b32_e32 v2, s13
	v_add_co_u32_e32 v4, vcc, s12, v0
	v_addc_co_u32_e32 v5, vcc, v2, v1, vcc
	global_load_dword v6, v[4:5], off
	global_load_dwordx2 v[2:3], v[4:5], off offset:8
	v_mbcnt_lo_u32_b32 v4, -1, 0
	v_mbcnt_hi_u32_b32 v4, -1, v4
	v_and_b32_e32 v5, 15, v4
	v_cmp_ne_u32_e32 vcc, 0, v5
	v_cmp_lt_u32_e64 s[0:1], 1, v5
	v_cmp_lt_u32_e64 s[2:3], 3, v5
	;; [unrolled: 1-line block ×3, first 2 shown]
	v_and_b32_e32 v5, 16, v4
	v_cmp_ne_u32_e64 s[6:7], 0, v5
	v_subrev_co_u32_e64 v5, s[10:11], 1, v4
	v_and_b32_e32 v7, 64, v4
	v_cmp_lt_i32_e64 s[12:13], v5, v7
	v_cmp_lt_u32_e64 s[8:9], 31, v4
	v_cndmask_b32_e64 v4, v5, v4, s[12:13]
	v_lshlrev_b32_e32 v7, 2, v4
	s_movk_i32 s19, 0x64
	s_branch .LBB95_2
.LBB95_1:                               ;   in Loop: Header=BB95_2 Depth=1
	s_or_b64 exec, exec, s[12:13]
	v_add_f64 v[2:3], s[16:17], v[2:3]
	v_add_u32_e32 v4, s18, v6
	ds_bpermute_b32 v4, v7, v4
	v_mov_b32_e32 v5, s18
	v_mov_b32_e32 v8, s17
	;; [unrolled: 1-line block ×3, first 2 shown]
	s_add_i32 s19, s19, -1
	s_cmp_lg_u32 s19, 0
	ds_bpermute_b32 v3, v7, v3
	ds_bpermute_b32 v2, v7, v2
	s_waitcnt lgkmcnt(2)
	v_cndmask_b32_e64 v6, v4, v5, s[10:11]
	s_waitcnt lgkmcnt(1)
	v_cndmask_b32_e64 v3, v3, v8, s[10:11]
	;; [unrolled: 2-line block ×3, first 2 shown]
	s_cbranch_scc0 .LBB95_14
.LBB95_2:                               ; =>This Inner Loop Header: Depth=1
	s_waitcnt vmcnt(1)
	v_mov_b32_dpp v8, v6 row_shr:1 row_mask:0xf bank_mask:0xf
	s_waitcnt vmcnt(0)
	v_mov_b32_dpp v4, v2 row_shr:1 row_mask:0xf bank_mask:0xf
	v_mov_b32_dpp v5, v3 row_shr:1 row_mask:0xf bank_mask:0xf
	s_and_saveexec_b64 s[12:13], vcc
; %bb.3:                                ;   in Loop: Header=BB95_2 Depth=1
	v_add_f64 v[2:3], v[2:3], v[4:5]
	v_add_u32_e32 v6, v8, v6
; %bb.4:                                ;   in Loop: Header=BB95_2 Depth=1
	s_or_b64 exec, exec, s[12:13]
	s_nop 0
	v_mov_b32_dpp v8, v6 row_shr:2 row_mask:0xf bank_mask:0xf
	v_mov_b32_dpp v4, v2 row_shr:2 row_mask:0xf bank_mask:0xf
	v_mov_b32_dpp v5, v3 row_shr:2 row_mask:0xf bank_mask:0xf
	s_and_saveexec_b64 s[12:13], s[0:1]
; %bb.5:                                ;   in Loop: Header=BB95_2 Depth=1
	v_add_f64 v[2:3], v[2:3], v[4:5]
	v_add_u32_e32 v6, v8, v6
; %bb.6:                                ;   in Loop: Header=BB95_2 Depth=1
	s_or_b64 exec, exec, s[12:13]
	s_nop 0
	v_mov_b32_dpp v8, v6 row_shr:4 row_mask:0xf bank_mask:0xf
	v_mov_b32_dpp v4, v2 row_shr:4 row_mask:0xf bank_mask:0xf
	v_mov_b32_dpp v5, v3 row_shr:4 row_mask:0xf bank_mask:0xf
	s_and_saveexec_b64 s[12:13], s[2:3]
	;; [unrolled: 10-line block ×3, first 2 shown]
; %bb.9:                                ;   in Loop: Header=BB95_2 Depth=1
	v_add_f64 v[2:3], v[2:3], v[4:5]
	v_add_u32_e32 v6, v8, v6
; %bb.10:                               ;   in Loop: Header=BB95_2 Depth=1
	s_or_b64 exec, exec, s[12:13]
	s_nop 0
	v_mov_b32_dpp v8, v6 row_bcast:15 row_mask:0xf bank_mask:0xf
	v_mov_b32_dpp v4, v2 row_bcast:15 row_mask:0xf bank_mask:0xf
	;; [unrolled: 1-line block ×3, first 2 shown]
	s_and_saveexec_b64 s[12:13], s[6:7]
; %bb.11:                               ;   in Loop: Header=BB95_2 Depth=1
	v_add_f64 v[2:3], v[2:3], v[4:5]
	v_add_u32_e32 v6, v8, v6
; %bb.12:                               ;   in Loop: Header=BB95_2 Depth=1
	s_or_b64 exec, exec, s[12:13]
	s_nop 0
	v_mov_b32_dpp v8, v6 row_bcast:31 row_mask:0xf bank_mask:0xf
	v_mov_b32_dpp v4, v2 row_bcast:31 row_mask:0xf bank_mask:0xf
	;; [unrolled: 1-line block ×3, first 2 shown]
	s_and_saveexec_b64 s[12:13], s[8:9]
	s_cbranch_execz .LBB95_1
; %bb.13:                               ;   in Loop: Header=BB95_2 Depth=1
	v_add_f64 v[2:3], v[2:3], v[4:5]
	v_add_u32_e32 v6, v8, v6
	s_branch .LBB95_1
.LBB95_14:
	v_mov_b32_e32 v4, s15
	v_add_co_u32_e32 v0, vcc, s14, v0
	v_addc_co_u32_e32 v1, vcc, v4, v1, vcc
	global_store_dword v[0:1], v6, off
	global_store_dwordx2 v[0:1], v[2:3], off offset:8
	s_endpgm
	.section	.rodata,"a",@progbits
	.p2align	6, 0x0
	.amdhsa_kernel _Z6kernelI14exclusive_scanN15benchmark_utils11custom_typeIidEELj256ELj64ELj100EEvPKT0_PS4_S4_
		.amdhsa_group_segment_fixed_size 0
		.amdhsa_private_segment_fixed_size 0
		.amdhsa_kernarg_size 288
		.amdhsa_user_sgpr_count 6
		.amdhsa_user_sgpr_private_segment_buffer 1
		.amdhsa_user_sgpr_dispatch_ptr 0
		.amdhsa_user_sgpr_queue_ptr 0
		.amdhsa_user_sgpr_kernarg_segment_ptr 1
		.amdhsa_user_sgpr_dispatch_id 0
		.amdhsa_user_sgpr_flat_scratch_init 0
		.amdhsa_user_sgpr_private_segment_size 0
		.amdhsa_uses_dynamic_stack 0
		.amdhsa_system_sgpr_private_segment_wavefront_offset 0
		.amdhsa_system_sgpr_workgroup_id_x 1
		.amdhsa_system_sgpr_workgroup_id_y 0
		.amdhsa_system_sgpr_workgroup_id_z 0
		.amdhsa_system_sgpr_workgroup_info 0
		.amdhsa_system_vgpr_workitem_id 0
		.amdhsa_next_free_vgpr 10
		.amdhsa_next_free_sgpr 20
		.amdhsa_reserve_vcc 1
		.amdhsa_reserve_flat_scratch 0
		.amdhsa_float_round_mode_32 0
		.amdhsa_float_round_mode_16_64 0
		.amdhsa_float_denorm_mode_32 3
		.amdhsa_float_denorm_mode_16_64 3
		.amdhsa_dx10_clamp 1
		.amdhsa_ieee_mode 1
		.amdhsa_fp16_overflow 0
		.amdhsa_exception_fp_ieee_invalid_op 0
		.amdhsa_exception_fp_denorm_src 0
		.amdhsa_exception_fp_ieee_div_zero 0
		.amdhsa_exception_fp_ieee_overflow 0
		.amdhsa_exception_fp_ieee_underflow 0
		.amdhsa_exception_fp_ieee_inexact 0
		.amdhsa_exception_int_div_zero 0
	.end_amdhsa_kernel
	.section	.text._Z6kernelI14exclusive_scanN15benchmark_utils11custom_typeIidEELj256ELj64ELj100EEvPKT0_PS4_S4_,"axG",@progbits,_Z6kernelI14exclusive_scanN15benchmark_utils11custom_typeIidEELj256ELj64ELj100EEvPKT0_PS4_S4_,comdat
.Lfunc_end95:
	.size	_Z6kernelI14exclusive_scanN15benchmark_utils11custom_typeIidEELj256ELj64ELj100EEvPKT0_PS4_S4_, .Lfunc_end95-_Z6kernelI14exclusive_scanN15benchmark_utils11custom_typeIidEELj256ELj64ELj100EEvPKT0_PS4_S4_
                                        ; -- End function
	.set _Z6kernelI14exclusive_scanN15benchmark_utils11custom_typeIidEELj256ELj64ELj100EEvPKT0_PS4_S4_.num_vgpr, 10
	.set _Z6kernelI14exclusive_scanN15benchmark_utils11custom_typeIidEELj256ELj64ELj100EEvPKT0_PS4_S4_.num_agpr, 0
	.set _Z6kernelI14exclusive_scanN15benchmark_utils11custom_typeIidEELj256ELj64ELj100EEvPKT0_PS4_S4_.numbered_sgpr, 20
	.set _Z6kernelI14exclusive_scanN15benchmark_utils11custom_typeIidEELj256ELj64ELj100EEvPKT0_PS4_S4_.num_named_barrier, 0
	.set _Z6kernelI14exclusive_scanN15benchmark_utils11custom_typeIidEELj256ELj64ELj100EEvPKT0_PS4_S4_.private_seg_size, 0
	.set _Z6kernelI14exclusive_scanN15benchmark_utils11custom_typeIidEELj256ELj64ELj100EEvPKT0_PS4_S4_.uses_vcc, 1
	.set _Z6kernelI14exclusive_scanN15benchmark_utils11custom_typeIidEELj256ELj64ELj100EEvPKT0_PS4_S4_.uses_flat_scratch, 0
	.set _Z6kernelI14exclusive_scanN15benchmark_utils11custom_typeIidEELj256ELj64ELj100EEvPKT0_PS4_S4_.has_dyn_sized_stack, 0
	.set _Z6kernelI14exclusive_scanN15benchmark_utils11custom_typeIidEELj256ELj64ELj100EEvPKT0_PS4_S4_.has_recursion, 0
	.set _Z6kernelI14exclusive_scanN15benchmark_utils11custom_typeIidEELj256ELj64ELj100EEvPKT0_PS4_S4_.has_indirect_call, 0
	.section	.AMDGPU.csdata,"",@progbits
; Kernel info:
; codeLenInByte = 628
; TotalNumSgprs: 24
; NumVgprs: 10
; ScratchSize: 0
; MemoryBound: 0
; FloatMode: 240
; IeeeMode: 1
; LDSByteSize: 0 bytes/workgroup (compile time only)
; SGPRBlocks: 2
; VGPRBlocks: 2
; NumSGPRsForWavesPerEU: 24
; NumVGPRsForWavesPerEU: 10
; Occupancy: 10
; WaveLimiterHint : 0
; COMPUTE_PGM_RSRC2:SCRATCH_EN: 0
; COMPUTE_PGM_RSRC2:USER_SGPR: 6
; COMPUTE_PGM_RSRC2:TRAP_HANDLER: 0
; COMPUTE_PGM_RSRC2:TGID_X_EN: 1
; COMPUTE_PGM_RSRC2:TGID_Y_EN: 0
; COMPUTE_PGM_RSRC2:TGID_Z_EN: 0
; COMPUTE_PGM_RSRC2:TIDIG_COMP_CNT: 0
	.section	.text._Z6kernelI9broadcastiLj60ELj15ELj100EEvPKT0_PS1_S1_,"axG",@progbits,_Z6kernelI9broadcastiLj60ELj15ELj100EEvPKT0_PS1_S1_,comdat
	.protected	_Z6kernelI9broadcastiLj60ELj15ELj100EEvPKT0_PS1_S1_ ; -- Begin function _Z6kernelI9broadcastiLj60ELj15ELj100EEvPKT0_PS1_S1_
	.globl	_Z6kernelI9broadcastiLj60ELj15ELj100EEvPKT0_PS1_S1_
	.p2align	8
	.type	_Z6kernelI9broadcastiLj60ELj15ELj100EEvPKT0_PS1_S1_,@function
_Z6kernelI9broadcastiLj60ELj15ELj100EEvPKT0_PS1_S1_: ; @_Z6kernelI9broadcastiLj60ELj15ELj100EEvPKT0_PS1_S1_
; %bb.0:
	s_load_dword s7, s[4:5], 0x24
	s_load_dwordx4 s[0:3], s[4:5], 0x0
	v_mov_b32_e32 v1, 0
	s_waitcnt lgkmcnt(0)
	s_and_b32 s4, s7, 0xffff
	s_mul_i32 s6, s6, s4
	v_add_u32_e32 v0, s6, v0
	v_lshlrev_b64 v[2:3], 2, v[0:1]
	v_mov_b32_e32 v0, s1
	v_add_co_u32_e32 v4, vcc, s0, v2
	v_addc_co_u32_e32 v5, vcc, v0, v3, vcc
	global_load_dword v0, v[4:5], off
	v_mbcnt_lo_u32_b32 v4, -1, 0
	v_mbcnt_hi_u32_b32 v4, -1, v4
	s_mov_b32 s0, 0xeeeeeeef
	v_mul_lo_u32 v4, v4, s0
	s_mov_b32 s0, 0x11111112
	s_movk_i32 s4, 0x64
	v_cmp_gt_u32_e32 vcc, s0, v4
	s_branch .LBB96_2
.LBB96_1:                               ;   in Loop: Header=BB96_2 Depth=1
	s_or_b64 exec, exec, s[0:1]
	; wave barrier
	s_waitcnt vmcnt(0) lgkmcnt(0)
	ds_read_b32 v0, v1
	s_add_i32 s4, s4, -1
	s_cmp_lg_u32 s4, 0
	s_cbranch_scc0 .LBB96_4
.LBB96_2:                               ; =>This Inner Loop Header: Depth=1
	s_and_saveexec_b64 s[0:1], vcc
	s_cbranch_execz .LBB96_1
; %bb.3:                                ;   in Loop: Header=BB96_2 Depth=1
	s_waitcnt vmcnt(0) lgkmcnt(0)
	ds_write_b32 v1, v0
	s_branch .LBB96_1
.LBB96_4:
	v_mov_b32_e32 v4, s3
	v_add_co_u32_e32 v1, vcc, s2, v2
	v_addc_co_u32_e32 v2, vcc, v4, v3, vcc
	s_waitcnt lgkmcnt(0)
	global_store_dword v[1:2], v0, off
	s_endpgm
	.section	.rodata,"a",@progbits
	.p2align	6, 0x0
	.amdhsa_kernel _Z6kernelI9broadcastiLj60ELj15ELj100EEvPKT0_PS1_S1_
		.amdhsa_group_segment_fixed_size 60
		.amdhsa_private_segment_fixed_size 0
		.amdhsa_kernarg_size 280
		.amdhsa_user_sgpr_count 6
		.amdhsa_user_sgpr_private_segment_buffer 1
		.amdhsa_user_sgpr_dispatch_ptr 0
		.amdhsa_user_sgpr_queue_ptr 0
		.amdhsa_user_sgpr_kernarg_segment_ptr 1
		.amdhsa_user_sgpr_dispatch_id 0
		.amdhsa_user_sgpr_flat_scratch_init 0
		.amdhsa_user_sgpr_private_segment_size 0
		.amdhsa_uses_dynamic_stack 0
		.amdhsa_system_sgpr_private_segment_wavefront_offset 0
		.amdhsa_system_sgpr_workgroup_id_x 1
		.amdhsa_system_sgpr_workgroup_id_y 0
		.amdhsa_system_sgpr_workgroup_id_z 0
		.amdhsa_system_sgpr_workgroup_info 0
		.amdhsa_system_vgpr_workitem_id 0
		.amdhsa_next_free_vgpr 6
		.amdhsa_next_free_sgpr 8
		.amdhsa_reserve_vcc 1
		.amdhsa_reserve_flat_scratch 0
		.amdhsa_float_round_mode_32 0
		.amdhsa_float_round_mode_16_64 0
		.amdhsa_float_denorm_mode_32 3
		.amdhsa_float_denorm_mode_16_64 3
		.amdhsa_dx10_clamp 1
		.amdhsa_ieee_mode 1
		.amdhsa_fp16_overflow 0
		.amdhsa_exception_fp_ieee_invalid_op 0
		.amdhsa_exception_fp_denorm_src 0
		.amdhsa_exception_fp_ieee_div_zero 0
		.amdhsa_exception_fp_ieee_overflow 0
		.amdhsa_exception_fp_ieee_underflow 0
		.amdhsa_exception_fp_ieee_inexact 0
		.amdhsa_exception_int_div_zero 0
	.end_amdhsa_kernel
	.section	.text._Z6kernelI9broadcastiLj60ELj15ELj100EEvPKT0_PS1_S1_,"axG",@progbits,_Z6kernelI9broadcastiLj60ELj15ELj100EEvPKT0_PS1_S1_,comdat
.Lfunc_end96:
	.size	_Z6kernelI9broadcastiLj60ELj15ELj100EEvPKT0_PS1_S1_, .Lfunc_end96-_Z6kernelI9broadcastiLj60ELj15ELj100EEvPKT0_PS1_S1_
                                        ; -- End function
	.set _Z6kernelI9broadcastiLj60ELj15ELj100EEvPKT0_PS1_S1_.num_vgpr, 6
	.set _Z6kernelI9broadcastiLj60ELj15ELj100EEvPKT0_PS1_S1_.num_agpr, 0
	.set _Z6kernelI9broadcastiLj60ELj15ELj100EEvPKT0_PS1_S1_.numbered_sgpr, 8
	.set _Z6kernelI9broadcastiLj60ELj15ELj100EEvPKT0_PS1_S1_.num_named_barrier, 0
	.set _Z6kernelI9broadcastiLj60ELj15ELj100EEvPKT0_PS1_S1_.private_seg_size, 0
	.set _Z6kernelI9broadcastiLj60ELj15ELj100EEvPKT0_PS1_S1_.uses_vcc, 1
	.set _Z6kernelI9broadcastiLj60ELj15ELj100EEvPKT0_PS1_S1_.uses_flat_scratch, 0
	.set _Z6kernelI9broadcastiLj60ELj15ELj100EEvPKT0_PS1_S1_.has_dyn_sized_stack, 0
	.set _Z6kernelI9broadcastiLj60ELj15ELj100EEvPKT0_PS1_S1_.has_recursion, 0
	.set _Z6kernelI9broadcastiLj60ELj15ELj100EEvPKT0_PS1_S1_.has_indirect_call, 0
	.section	.AMDGPU.csdata,"",@progbits
; Kernel info:
; codeLenInByte = 200
; TotalNumSgprs: 12
; NumVgprs: 6
; ScratchSize: 0
; MemoryBound: 0
; FloatMode: 240
; IeeeMode: 1
; LDSByteSize: 60 bytes/workgroup (compile time only)
; SGPRBlocks: 1
; VGPRBlocks: 1
; NumSGPRsForWavesPerEU: 12
; NumVGPRsForWavesPerEU: 6
; Occupancy: 10
; WaveLimiterHint : 0
; COMPUTE_PGM_RSRC2:SCRATCH_EN: 0
; COMPUTE_PGM_RSRC2:USER_SGPR: 6
; COMPUTE_PGM_RSRC2:TRAP_HANDLER: 0
; COMPUTE_PGM_RSRC2:TGID_X_EN: 1
; COMPUTE_PGM_RSRC2:TGID_Y_EN: 0
; COMPUTE_PGM_RSRC2:TGID_Z_EN: 0
; COMPUTE_PGM_RSRC2:TIDIG_COMP_CNT: 0
	.section	.text._Z6kernelI9broadcastiLj256ELj16ELj100EEvPKT0_PS1_S1_,"axG",@progbits,_Z6kernelI9broadcastiLj256ELj16ELj100EEvPKT0_PS1_S1_,comdat
	.protected	_Z6kernelI9broadcastiLj256ELj16ELj100EEvPKT0_PS1_S1_ ; -- Begin function _Z6kernelI9broadcastiLj256ELj16ELj100EEvPKT0_PS1_S1_
	.globl	_Z6kernelI9broadcastiLj256ELj16ELj100EEvPKT0_PS1_S1_
	.p2align	8
	.type	_Z6kernelI9broadcastiLj256ELj16ELj100EEvPKT0_PS1_S1_,@function
_Z6kernelI9broadcastiLj256ELj16ELj100EEvPKT0_PS1_S1_: ; @_Z6kernelI9broadcastiLj256ELj16ELj100EEvPKT0_PS1_S1_
; %bb.0:
	s_load_dword s7, s[4:5], 0x24
	s_load_dwordx4 s[0:3], s[4:5], 0x0
	v_mov_b32_e32 v1, 0
	s_waitcnt lgkmcnt(0)
	s_and_b32 s4, s7, 0xffff
	s_mul_i32 s6, s6, s4
	v_add_u32_e32 v0, s6, v0
	v_lshlrev_b64 v[0:1], 2, v[0:1]
	v_mov_b32_e32 v3, s1
	v_add_co_u32_e32 v2, vcc, s0, v0
	v_addc_co_u32_e32 v3, vcc, v3, v1, vcc
	global_load_dword v2, v[2:3], off
	v_mbcnt_lo_u32_b32 v3, -1, 0
	v_mbcnt_hi_u32_b32 v3, -1, v3
	v_lshlrev_b32_e32 v3, 2, v3
	v_and_b32_e32 v3, 0x1c0, v3
	s_movk_i32 s0, 0x64
.LBB97_1:                               ; =>This Inner Loop Header: Depth=1
	s_waitcnt vmcnt(0) lgkmcnt(0)
	ds_bpermute_b32 v2, v3, v2
	s_add_i32 s0, s0, -1
	s_cmp_lg_u32 s0, 0
	s_cbranch_scc1 .LBB97_1
; %bb.2:
	v_mov_b32_e32 v3, s3
	v_add_co_u32_e32 v0, vcc, s2, v0
	v_addc_co_u32_e32 v1, vcc, v3, v1, vcc
	s_waitcnt lgkmcnt(0)
	global_store_dword v[0:1], v2, off
	s_endpgm
	.section	.rodata,"a",@progbits
	.p2align	6, 0x0
	.amdhsa_kernel _Z6kernelI9broadcastiLj256ELj16ELj100EEvPKT0_PS1_S1_
		.amdhsa_group_segment_fixed_size 0
		.amdhsa_private_segment_fixed_size 0
		.amdhsa_kernarg_size 280
		.amdhsa_user_sgpr_count 6
		.amdhsa_user_sgpr_private_segment_buffer 1
		.amdhsa_user_sgpr_dispatch_ptr 0
		.amdhsa_user_sgpr_queue_ptr 0
		.amdhsa_user_sgpr_kernarg_segment_ptr 1
		.amdhsa_user_sgpr_dispatch_id 0
		.amdhsa_user_sgpr_flat_scratch_init 0
		.amdhsa_user_sgpr_private_segment_size 0
		.amdhsa_uses_dynamic_stack 0
		.amdhsa_system_sgpr_private_segment_wavefront_offset 0
		.amdhsa_system_sgpr_workgroup_id_x 1
		.amdhsa_system_sgpr_workgroup_id_y 0
		.amdhsa_system_sgpr_workgroup_id_z 0
		.amdhsa_system_sgpr_workgroup_info 0
		.amdhsa_system_vgpr_workitem_id 0
		.amdhsa_next_free_vgpr 4
		.amdhsa_next_free_sgpr 8
		.amdhsa_reserve_vcc 1
		.amdhsa_reserve_flat_scratch 0
		.amdhsa_float_round_mode_32 0
		.amdhsa_float_round_mode_16_64 0
		.amdhsa_float_denorm_mode_32 3
		.amdhsa_float_denorm_mode_16_64 3
		.amdhsa_dx10_clamp 1
		.amdhsa_ieee_mode 1
		.amdhsa_fp16_overflow 0
		.amdhsa_exception_fp_ieee_invalid_op 0
		.amdhsa_exception_fp_denorm_src 0
		.amdhsa_exception_fp_ieee_div_zero 0
		.amdhsa_exception_fp_ieee_overflow 0
		.amdhsa_exception_fp_ieee_underflow 0
		.amdhsa_exception_fp_ieee_inexact 0
		.amdhsa_exception_int_div_zero 0
	.end_amdhsa_kernel
	.section	.text._Z6kernelI9broadcastiLj256ELj16ELj100EEvPKT0_PS1_S1_,"axG",@progbits,_Z6kernelI9broadcastiLj256ELj16ELj100EEvPKT0_PS1_S1_,comdat
.Lfunc_end97:
	.size	_Z6kernelI9broadcastiLj256ELj16ELj100EEvPKT0_PS1_S1_, .Lfunc_end97-_Z6kernelI9broadcastiLj256ELj16ELj100EEvPKT0_PS1_S1_
                                        ; -- End function
	.set _Z6kernelI9broadcastiLj256ELj16ELj100EEvPKT0_PS1_S1_.num_vgpr, 4
	.set _Z6kernelI9broadcastiLj256ELj16ELj100EEvPKT0_PS1_S1_.num_agpr, 0
	.set _Z6kernelI9broadcastiLj256ELj16ELj100EEvPKT0_PS1_S1_.numbered_sgpr, 8
	.set _Z6kernelI9broadcastiLj256ELj16ELj100EEvPKT0_PS1_S1_.num_named_barrier, 0
	.set _Z6kernelI9broadcastiLj256ELj16ELj100EEvPKT0_PS1_S1_.private_seg_size, 0
	.set _Z6kernelI9broadcastiLj256ELj16ELj100EEvPKT0_PS1_S1_.uses_vcc, 1
	.set _Z6kernelI9broadcastiLj256ELj16ELj100EEvPKT0_PS1_S1_.uses_flat_scratch, 0
	.set _Z6kernelI9broadcastiLj256ELj16ELj100EEvPKT0_PS1_S1_.has_dyn_sized_stack, 0
	.set _Z6kernelI9broadcastiLj256ELj16ELj100EEvPKT0_PS1_S1_.has_recursion, 0
	.set _Z6kernelI9broadcastiLj256ELj16ELj100EEvPKT0_PS1_S1_.has_indirect_call, 0
	.section	.AMDGPU.csdata,"",@progbits
; Kernel info:
; codeLenInByte = 152
; TotalNumSgprs: 12
; NumVgprs: 4
; ScratchSize: 0
; MemoryBound: 0
; FloatMode: 240
; IeeeMode: 1
; LDSByteSize: 0 bytes/workgroup (compile time only)
; SGPRBlocks: 1
; VGPRBlocks: 0
; NumSGPRsForWavesPerEU: 12
; NumVGPRsForWavesPerEU: 4
; Occupancy: 10
; WaveLimiterHint : 0
; COMPUTE_PGM_RSRC2:SCRATCH_EN: 0
; COMPUTE_PGM_RSRC2:USER_SGPR: 6
; COMPUTE_PGM_RSRC2:TRAP_HANDLER: 0
; COMPUTE_PGM_RSRC2:TGID_X_EN: 1
; COMPUTE_PGM_RSRC2:TGID_Y_EN: 0
; COMPUTE_PGM_RSRC2:TGID_Z_EN: 0
; COMPUTE_PGM_RSRC2:TIDIG_COMP_CNT: 0
	.section	.text._Z6kernelI9broadcastiLj62ELj31ELj100EEvPKT0_PS1_S1_,"axG",@progbits,_Z6kernelI9broadcastiLj62ELj31ELj100EEvPKT0_PS1_S1_,comdat
	.protected	_Z6kernelI9broadcastiLj62ELj31ELj100EEvPKT0_PS1_S1_ ; -- Begin function _Z6kernelI9broadcastiLj62ELj31ELj100EEvPKT0_PS1_S1_
	.globl	_Z6kernelI9broadcastiLj62ELj31ELj100EEvPKT0_PS1_S1_
	.p2align	8
	.type	_Z6kernelI9broadcastiLj62ELj31ELj100EEvPKT0_PS1_S1_,@function
_Z6kernelI9broadcastiLj62ELj31ELj100EEvPKT0_PS1_S1_: ; @_Z6kernelI9broadcastiLj62ELj31ELj100EEvPKT0_PS1_S1_
; %bb.0:
	s_load_dword s7, s[4:5], 0x24
	s_load_dwordx4 s[0:3], s[4:5], 0x0
	v_mov_b32_e32 v1, 0
	s_waitcnt lgkmcnt(0)
	s_and_b32 s4, s7, 0xffff
	s_mul_i32 s6, s6, s4
	v_add_u32_e32 v0, s6, v0
	v_lshlrev_b64 v[2:3], 2, v[0:1]
	v_mov_b32_e32 v0, s1
	v_add_co_u32_e32 v4, vcc, s0, v2
	v_addc_co_u32_e32 v5, vcc, v0, v3, vcc
	global_load_dword v0, v[4:5], off
	v_mbcnt_lo_u32_b32 v4, -1, 0
	v_mbcnt_hi_u32_b32 v4, -1, v4
	s_mov_b32 s0, 0xbdef7bdf
	v_mul_lo_u32 v4, v4, s0
	s_mov_b32 s0, 0x8421085
	s_movk_i32 s4, 0x64
	v_cmp_gt_u32_e32 vcc, s0, v4
	s_branch .LBB98_2
.LBB98_1:                               ;   in Loop: Header=BB98_2 Depth=1
	s_or_b64 exec, exec, s[0:1]
	; wave barrier
	s_waitcnt vmcnt(0) lgkmcnt(0)
	ds_read_b32 v0, v1
	s_add_i32 s4, s4, -1
	s_cmp_lg_u32 s4, 0
	s_cbranch_scc0 .LBB98_4
.LBB98_2:                               ; =>This Inner Loop Header: Depth=1
	s_and_saveexec_b64 s[0:1], vcc
	s_cbranch_execz .LBB98_1
; %bb.3:                                ;   in Loop: Header=BB98_2 Depth=1
	s_waitcnt vmcnt(0) lgkmcnt(0)
	ds_write_b32 v1, v0
	s_branch .LBB98_1
.LBB98_4:
	v_mov_b32_e32 v4, s3
	v_add_co_u32_e32 v1, vcc, s2, v2
	v_addc_co_u32_e32 v2, vcc, v4, v3, vcc
	s_waitcnt lgkmcnt(0)
	global_store_dword v[1:2], v0, off
	s_endpgm
	.section	.rodata,"a",@progbits
	.p2align	6, 0x0
	.amdhsa_kernel _Z6kernelI9broadcastiLj62ELj31ELj100EEvPKT0_PS1_S1_
		.amdhsa_group_segment_fixed_size 124
		.amdhsa_private_segment_fixed_size 0
		.amdhsa_kernarg_size 280
		.amdhsa_user_sgpr_count 6
		.amdhsa_user_sgpr_private_segment_buffer 1
		.amdhsa_user_sgpr_dispatch_ptr 0
		.amdhsa_user_sgpr_queue_ptr 0
		.amdhsa_user_sgpr_kernarg_segment_ptr 1
		.amdhsa_user_sgpr_dispatch_id 0
		.amdhsa_user_sgpr_flat_scratch_init 0
		.amdhsa_user_sgpr_private_segment_size 0
		.amdhsa_uses_dynamic_stack 0
		.amdhsa_system_sgpr_private_segment_wavefront_offset 0
		.amdhsa_system_sgpr_workgroup_id_x 1
		.amdhsa_system_sgpr_workgroup_id_y 0
		.amdhsa_system_sgpr_workgroup_id_z 0
		.amdhsa_system_sgpr_workgroup_info 0
		.amdhsa_system_vgpr_workitem_id 0
		.amdhsa_next_free_vgpr 6
		.amdhsa_next_free_sgpr 8
		.amdhsa_reserve_vcc 1
		.amdhsa_reserve_flat_scratch 0
		.amdhsa_float_round_mode_32 0
		.amdhsa_float_round_mode_16_64 0
		.amdhsa_float_denorm_mode_32 3
		.amdhsa_float_denorm_mode_16_64 3
		.amdhsa_dx10_clamp 1
		.amdhsa_ieee_mode 1
		.amdhsa_fp16_overflow 0
		.amdhsa_exception_fp_ieee_invalid_op 0
		.amdhsa_exception_fp_denorm_src 0
		.amdhsa_exception_fp_ieee_div_zero 0
		.amdhsa_exception_fp_ieee_overflow 0
		.amdhsa_exception_fp_ieee_underflow 0
		.amdhsa_exception_fp_ieee_inexact 0
		.amdhsa_exception_int_div_zero 0
	.end_amdhsa_kernel
	.section	.text._Z6kernelI9broadcastiLj62ELj31ELj100EEvPKT0_PS1_S1_,"axG",@progbits,_Z6kernelI9broadcastiLj62ELj31ELj100EEvPKT0_PS1_S1_,comdat
.Lfunc_end98:
	.size	_Z6kernelI9broadcastiLj62ELj31ELj100EEvPKT0_PS1_S1_, .Lfunc_end98-_Z6kernelI9broadcastiLj62ELj31ELj100EEvPKT0_PS1_S1_
                                        ; -- End function
	.set _Z6kernelI9broadcastiLj62ELj31ELj100EEvPKT0_PS1_S1_.num_vgpr, 6
	.set _Z6kernelI9broadcastiLj62ELj31ELj100EEvPKT0_PS1_S1_.num_agpr, 0
	.set _Z6kernelI9broadcastiLj62ELj31ELj100EEvPKT0_PS1_S1_.numbered_sgpr, 8
	.set _Z6kernelI9broadcastiLj62ELj31ELj100EEvPKT0_PS1_S1_.num_named_barrier, 0
	.set _Z6kernelI9broadcastiLj62ELj31ELj100EEvPKT0_PS1_S1_.private_seg_size, 0
	.set _Z6kernelI9broadcastiLj62ELj31ELj100EEvPKT0_PS1_S1_.uses_vcc, 1
	.set _Z6kernelI9broadcastiLj62ELj31ELj100EEvPKT0_PS1_S1_.uses_flat_scratch, 0
	.set _Z6kernelI9broadcastiLj62ELj31ELj100EEvPKT0_PS1_S1_.has_dyn_sized_stack, 0
	.set _Z6kernelI9broadcastiLj62ELj31ELj100EEvPKT0_PS1_S1_.has_recursion, 0
	.set _Z6kernelI9broadcastiLj62ELj31ELj100EEvPKT0_PS1_S1_.has_indirect_call, 0
	.section	.AMDGPU.csdata,"",@progbits
; Kernel info:
; codeLenInByte = 200
; TotalNumSgprs: 12
; NumVgprs: 6
; ScratchSize: 0
; MemoryBound: 0
; FloatMode: 240
; IeeeMode: 1
; LDSByteSize: 124 bytes/workgroup (compile time only)
; SGPRBlocks: 1
; VGPRBlocks: 1
; NumSGPRsForWavesPerEU: 12
; NumVGPRsForWavesPerEU: 6
; Occupancy: 10
; WaveLimiterHint : 0
; COMPUTE_PGM_RSRC2:SCRATCH_EN: 0
; COMPUTE_PGM_RSRC2:USER_SGPR: 6
; COMPUTE_PGM_RSRC2:TRAP_HANDLER: 0
; COMPUTE_PGM_RSRC2:TGID_X_EN: 1
; COMPUTE_PGM_RSRC2:TGID_Y_EN: 0
; COMPUTE_PGM_RSRC2:TGID_Z_EN: 0
; COMPUTE_PGM_RSRC2:TIDIG_COMP_CNT: 0
	.section	.text._Z6kernelI9broadcastiLj256ELj32ELj100EEvPKT0_PS1_S1_,"axG",@progbits,_Z6kernelI9broadcastiLj256ELj32ELj100EEvPKT0_PS1_S1_,comdat
	.protected	_Z6kernelI9broadcastiLj256ELj32ELj100EEvPKT0_PS1_S1_ ; -- Begin function _Z6kernelI9broadcastiLj256ELj32ELj100EEvPKT0_PS1_S1_
	.globl	_Z6kernelI9broadcastiLj256ELj32ELj100EEvPKT0_PS1_S1_
	.p2align	8
	.type	_Z6kernelI9broadcastiLj256ELj32ELj100EEvPKT0_PS1_S1_,@function
_Z6kernelI9broadcastiLj256ELj32ELj100EEvPKT0_PS1_S1_: ; @_Z6kernelI9broadcastiLj256ELj32ELj100EEvPKT0_PS1_S1_
; %bb.0:
	s_load_dword s7, s[4:5], 0x24
	s_load_dwordx4 s[0:3], s[4:5], 0x0
	v_mov_b32_e32 v1, 0
	s_waitcnt lgkmcnt(0)
	s_and_b32 s4, s7, 0xffff
	s_mul_i32 s6, s6, s4
	v_add_u32_e32 v0, s6, v0
	v_lshlrev_b64 v[0:1], 2, v[0:1]
	v_mov_b32_e32 v3, s1
	v_add_co_u32_e32 v2, vcc, s0, v0
	v_addc_co_u32_e32 v3, vcc, v3, v1, vcc
	global_load_dword v2, v[2:3], off
	v_mbcnt_lo_u32_b32 v3, -1, 0
	v_mbcnt_hi_u32_b32 v3, -1, v3
	v_lshlrev_b32_e32 v3, 2, v3
	v_and_b32_e32 v3, 0x180, v3
	s_movk_i32 s0, 0x64
.LBB99_1:                               ; =>This Inner Loop Header: Depth=1
	s_waitcnt vmcnt(0) lgkmcnt(0)
	ds_bpermute_b32 v2, v3, v2
	s_add_i32 s0, s0, -1
	s_cmp_lg_u32 s0, 0
	s_cbranch_scc1 .LBB99_1
; %bb.2:
	v_mov_b32_e32 v3, s3
	v_add_co_u32_e32 v0, vcc, s2, v0
	v_addc_co_u32_e32 v1, vcc, v3, v1, vcc
	s_waitcnt lgkmcnt(0)
	global_store_dword v[0:1], v2, off
	s_endpgm
	.section	.rodata,"a",@progbits
	.p2align	6, 0x0
	.amdhsa_kernel _Z6kernelI9broadcastiLj256ELj32ELj100EEvPKT0_PS1_S1_
		.amdhsa_group_segment_fixed_size 0
		.amdhsa_private_segment_fixed_size 0
		.amdhsa_kernarg_size 280
		.amdhsa_user_sgpr_count 6
		.amdhsa_user_sgpr_private_segment_buffer 1
		.amdhsa_user_sgpr_dispatch_ptr 0
		.amdhsa_user_sgpr_queue_ptr 0
		.amdhsa_user_sgpr_kernarg_segment_ptr 1
		.amdhsa_user_sgpr_dispatch_id 0
		.amdhsa_user_sgpr_flat_scratch_init 0
		.amdhsa_user_sgpr_private_segment_size 0
		.amdhsa_uses_dynamic_stack 0
		.amdhsa_system_sgpr_private_segment_wavefront_offset 0
		.amdhsa_system_sgpr_workgroup_id_x 1
		.amdhsa_system_sgpr_workgroup_id_y 0
		.amdhsa_system_sgpr_workgroup_id_z 0
		.amdhsa_system_sgpr_workgroup_info 0
		.amdhsa_system_vgpr_workitem_id 0
		.amdhsa_next_free_vgpr 4
		.amdhsa_next_free_sgpr 8
		.amdhsa_reserve_vcc 1
		.amdhsa_reserve_flat_scratch 0
		.amdhsa_float_round_mode_32 0
		.amdhsa_float_round_mode_16_64 0
		.amdhsa_float_denorm_mode_32 3
		.amdhsa_float_denorm_mode_16_64 3
		.amdhsa_dx10_clamp 1
		.amdhsa_ieee_mode 1
		.amdhsa_fp16_overflow 0
		.amdhsa_exception_fp_ieee_invalid_op 0
		.amdhsa_exception_fp_denorm_src 0
		.amdhsa_exception_fp_ieee_div_zero 0
		.amdhsa_exception_fp_ieee_overflow 0
		.amdhsa_exception_fp_ieee_underflow 0
		.amdhsa_exception_fp_ieee_inexact 0
		.amdhsa_exception_int_div_zero 0
	.end_amdhsa_kernel
	.section	.text._Z6kernelI9broadcastiLj256ELj32ELj100EEvPKT0_PS1_S1_,"axG",@progbits,_Z6kernelI9broadcastiLj256ELj32ELj100EEvPKT0_PS1_S1_,comdat
.Lfunc_end99:
	.size	_Z6kernelI9broadcastiLj256ELj32ELj100EEvPKT0_PS1_S1_, .Lfunc_end99-_Z6kernelI9broadcastiLj256ELj32ELj100EEvPKT0_PS1_S1_
                                        ; -- End function
	.set _Z6kernelI9broadcastiLj256ELj32ELj100EEvPKT0_PS1_S1_.num_vgpr, 4
	.set _Z6kernelI9broadcastiLj256ELj32ELj100EEvPKT0_PS1_S1_.num_agpr, 0
	.set _Z6kernelI9broadcastiLj256ELj32ELj100EEvPKT0_PS1_S1_.numbered_sgpr, 8
	.set _Z6kernelI9broadcastiLj256ELj32ELj100EEvPKT0_PS1_S1_.num_named_barrier, 0
	.set _Z6kernelI9broadcastiLj256ELj32ELj100EEvPKT0_PS1_S1_.private_seg_size, 0
	.set _Z6kernelI9broadcastiLj256ELj32ELj100EEvPKT0_PS1_S1_.uses_vcc, 1
	.set _Z6kernelI9broadcastiLj256ELj32ELj100EEvPKT0_PS1_S1_.uses_flat_scratch, 0
	.set _Z6kernelI9broadcastiLj256ELj32ELj100EEvPKT0_PS1_S1_.has_dyn_sized_stack, 0
	.set _Z6kernelI9broadcastiLj256ELj32ELj100EEvPKT0_PS1_S1_.has_recursion, 0
	.set _Z6kernelI9broadcastiLj256ELj32ELj100EEvPKT0_PS1_S1_.has_indirect_call, 0
	.section	.AMDGPU.csdata,"",@progbits
; Kernel info:
; codeLenInByte = 152
; TotalNumSgprs: 12
; NumVgprs: 4
; ScratchSize: 0
; MemoryBound: 0
; FloatMode: 240
; IeeeMode: 1
; LDSByteSize: 0 bytes/workgroup (compile time only)
; SGPRBlocks: 1
; VGPRBlocks: 0
; NumSGPRsForWavesPerEU: 12
; NumVGPRsForWavesPerEU: 4
; Occupancy: 10
; WaveLimiterHint : 0
; COMPUTE_PGM_RSRC2:SCRATCH_EN: 0
; COMPUTE_PGM_RSRC2:USER_SGPR: 6
; COMPUTE_PGM_RSRC2:TRAP_HANDLER: 0
; COMPUTE_PGM_RSRC2:TGID_X_EN: 1
; COMPUTE_PGM_RSRC2:TGID_Y_EN: 0
; COMPUTE_PGM_RSRC2:TGID_Z_EN: 0
; COMPUTE_PGM_RSRC2:TIDIG_COMP_CNT: 0
	.section	.text._Z6kernelI9broadcastiLj63ELj63ELj100EEvPKT0_PS1_S1_,"axG",@progbits,_Z6kernelI9broadcastiLj63ELj63ELj100EEvPKT0_PS1_S1_,comdat
	.protected	_Z6kernelI9broadcastiLj63ELj63ELj100EEvPKT0_PS1_S1_ ; -- Begin function _Z6kernelI9broadcastiLj63ELj63ELj100EEvPKT0_PS1_S1_
	.globl	_Z6kernelI9broadcastiLj63ELj63ELj100EEvPKT0_PS1_S1_
	.p2align	8
	.type	_Z6kernelI9broadcastiLj63ELj63ELj100EEvPKT0_PS1_S1_,@function
_Z6kernelI9broadcastiLj63ELj63ELj100EEvPKT0_PS1_S1_: ; @_Z6kernelI9broadcastiLj63ELj63ELj100EEvPKT0_PS1_S1_
; %bb.0:
	s_load_dword s7, s[4:5], 0x24
	s_load_dwordx4 s[0:3], s[4:5], 0x0
	v_mov_b32_e32 v1, 0
	s_waitcnt lgkmcnt(0)
	s_and_b32 s4, s7, 0xffff
	s_mul_i32 s6, s6, s4
	v_add_u32_e32 v0, s6, v0
	v_lshlrev_b64 v[2:3], 2, v[0:1]
	v_mov_b32_e32 v0, s1
	v_add_co_u32_e32 v4, vcc, s0, v2
	v_addc_co_u32_e32 v5, vcc, v0, v3, vcc
	global_load_dword v0, v[4:5], off
	v_mbcnt_lo_u32_b32 v4, -1, 0
	v_mbcnt_hi_u32_b32 v4, -1, v4
	s_mov_b32 s0, 0xbefbefbf
	v_mul_lo_u32 v4, v4, s0
	s_mov_b32 s0, 0x4104105
	s_movk_i32 s4, 0x64
	v_cmp_gt_u32_e32 vcc, s0, v4
	s_branch .LBB100_2
.LBB100_1:                              ;   in Loop: Header=BB100_2 Depth=1
	s_or_b64 exec, exec, s[0:1]
	; wave barrier
	s_waitcnt vmcnt(0) lgkmcnt(0)
	ds_read_b32 v0, v1
	s_add_i32 s4, s4, -1
	s_cmp_lg_u32 s4, 0
	s_cbranch_scc0 .LBB100_4
.LBB100_2:                              ; =>This Inner Loop Header: Depth=1
	s_and_saveexec_b64 s[0:1], vcc
	s_cbranch_execz .LBB100_1
; %bb.3:                                ;   in Loop: Header=BB100_2 Depth=1
	s_waitcnt vmcnt(0) lgkmcnt(0)
	ds_write_b32 v1, v0
	s_branch .LBB100_1
.LBB100_4:
	v_mov_b32_e32 v4, s3
	v_add_co_u32_e32 v1, vcc, s2, v2
	v_addc_co_u32_e32 v2, vcc, v4, v3, vcc
	s_waitcnt lgkmcnt(0)
	global_store_dword v[1:2], v0, off
	s_endpgm
	.section	.rodata,"a",@progbits
	.p2align	6, 0x0
	.amdhsa_kernel _Z6kernelI9broadcastiLj63ELj63ELj100EEvPKT0_PS1_S1_
		.amdhsa_group_segment_fixed_size 252
		.amdhsa_private_segment_fixed_size 0
		.amdhsa_kernarg_size 280
		.amdhsa_user_sgpr_count 6
		.amdhsa_user_sgpr_private_segment_buffer 1
		.amdhsa_user_sgpr_dispatch_ptr 0
		.amdhsa_user_sgpr_queue_ptr 0
		.amdhsa_user_sgpr_kernarg_segment_ptr 1
		.amdhsa_user_sgpr_dispatch_id 0
		.amdhsa_user_sgpr_flat_scratch_init 0
		.amdhsa_user_sgpr_private_segment_size 0
		.amdhsa_uses_dynamic_stack 0
		.amdhsa_system_sgpr_private_segment_wavefront_offset 0
		.amdhsa_system_sgpr_workgroup_id_x 1
		.amdhsa_system_sgpr_workgroup_id_y 0
		.amdhsa_system_sgpr_workgroup_id_z 0
		.amdhsa_system_sgpr_workgroup_info 0
		.amdhsa_system_vgpr_workitem_id 0
		.amdhsa_next_free_vgpr 6
		.amdhsa_next_free_sgpr 8
		.amdhsa_reserve_vcc 1
		.amdhsa_reserve_flat_scratch 0
		.amdhsa_float_round_mode_32 0
		.amdhsa_float_round_mode_16_64 0
		.amdhsa_float_denorm_mode_32 3
		.amdhsa_float_denorm_mode_16_64 3
		.amdhsa_dx10_clamp 1
		.amdhsa_ieee_mode 1
		.amdhsa_fp16_overflow 0
		.amdhsa_exception_fp_ieee_invalid_op 0
		.amdhsa_exception_fp_denorm_src 0
		.amdhsa_exception_fp_ieee_div_zero 0
		.amdhsa_exception_fp_ieee_overflow 0
		.amdhsa_exception_fp_ieee_underflow 0
		.amdhsa_exception_fp_ieee_inexact 0
		.amdhsa_exception_int_div_zero 0
	.end_amdhsa_kernel
	.section	.text._Z6kernelI9broadcastiLj63ELj63ELj100EEvPKT0_PS1_S1_,"axG",@progbits,_Z6kernelI9broadcastiLj63ELj63ELj100EEvPKT0_PS1_S1_,comdat
.Lfunc_end100:
	.size	_Z6kernelI9broadcastiLj63ELj63ELj100EEvPKT0_PS1_S1_, .Lfunc_end100-_Z6kernelI9broadcastiLj63ELj63ELj100EEvPKT0_PS1_S1_
                                        ; -- End function
	.set _Z6kernelI9broadcastiLj63ELj63ELj100EEvPKT0_PS1_S1_.num_vgpr, 6
	.set _Z6kernelI9broadcastiLj63ELj63ELj100EEvPKT0_PS1_S1_.num_agpr, 0
	.set _Z6kernelI9broadcastiLj63ELj63ELj100EEvPKT0_PS1_S1_.numbered_sgpr, 8
	.set _Z6kernelI9broadcastiLj63ELj63ELj100EEvPKT0_PS1_S1_.num_named_barrier, 0
	.set _Z6kernelI9broadcastiLj63ELj63ELj100EEvPKT0_PS1_S1_.private_seg_size, 0
	.set _Z6kernelI9broadcastiLj63ELj63ELj100EEvPKT0_PS1_S1_.uses_vcc, 1
	.set _Z6kernelI9broadcastiLj63ELj63ELj100EEvPKT0_PS1_S1_.uses_flat_scratch, 0
	.set _Z6kernelI9broadcastiLj63ELj63ELj100EEvPKT0_PS1_S1_.has_dyn_sized_stack, 0
	.set _Z6kernelI9broadcastiLj63ELj63ELj100EEvPKT0_PS1_S1_.has_recursion, 0
	.set _Z6kernelI9broadcastiLj63ELj63ELj100EEvPKT0_PS1_S1_.has_indirect_call, 0
	.section	.AMDGPU.csdata,"",@progbits
; Kernel info:
; codeLenInByte = 200
; TotalNumSgprs: 12
; NumVgprs: 6
; ScratchSize: 0
; MemoryBound: 0
; FloatMode: 240
; IeeeMode: 1
; LDSByteSize: 252 bytes/workgroup (compile time only)
; SGPRBlocks: 1
; VGPRBlocks: 1
; NumSGPRsForWavesPerEU: 12
; NumVGPRsForWavesPerEU: 6
; Occupancy: 10
; WaveLimiterHint : 0
; COMPUTE_PGM_RSRC2:SCRATCH_EN: 0
; COMPUTE_PGM_RSRC2:USER_SGPR: 6
; COMPUTE_PGM_RSRC2:TRAP_HANDLER: 0
; COMPUTE_PGM_RSRC2:TGID_X_EN: 1
; COMPUTE_PGM_RSRC2:TGID_Y_EN: 0
; COMPUTE_PGM_RSRC2:TGID_Z_EN: 0
; COMPUTE_PGM_RSRC2:TIDIG_COMP_CNT: 0
	.section	.text._Z6kernelI9broadcastiLj64ELj64ELj100EEvPKT0_PS1_S1_,"axG",@progbits,_Z6kernelI9broadcastiLj64ELj64ELj100EEvPKT0_PS1_S1_,comdat
	.protected	_Z6kernelI9broadcastiLj64ELj64ELj100EEvPKT0_PS1_S1_ ; -- Begin function _Z6kernelI9broadcastiLj64ELj64ELj100EEvPKT0_PS1_S1_
	.globl	_Z6kernelI9broadcastiLj64ELj64ELj100EEvPKT0_PS1_S1_
	.p2align	8
	.type	_Z6kernelI9broadcastiLj64ELj64ELj100EEvPKT0_PS1_S1_,@function
_Z6kernelI9broadcastiLj64ELj64ELj100EEvPKT0_PS1_S1_: ; @_Z6kernelI9broadcastiLj64ELj64ELj100EEvPKT0_PS1_S1_
; %bb.0:
	s_load_dword s7, s[4:5], 0x24
	s_load_dwordx4 s[0:3], s[4:5], 0x0
	v_mov_b32_e32 v1, 0
	s_waitcnt lgkmcnt(0)
	s_and_b32 s4, s7, 0xffff
	s_mul_i32 s6, s6, s4
	v_add_u32_e32 v0, s6, v0
	v_lshlrev_b64 v[0:1], 2, v[0:1]
	v_mov_b32_e32 v3, s1
	v_add_co_u32_e32 v2, vcc, s0, v0
	v_addc_co_u32_e32 v3, vcc, v3, v1, vcc
	global_load_dword v2, v[2:3], off
	v_mbcnt_lo_u32_b32 v3, -1, 0
	v_mbcnt_hi_u32_b32 v3, -1, v3
	v_lshlrev_b32_e32 v3, 2, v3
	v_and_b32_e32 v3, 0x100, v3
	s_movk_i32 s0, 0x64
.LBB101_1:                              ; =>This Inner Loop Header: Depth=1
	s_waitcnt vmcnt(0) lgkmcnt(0)
	ds_bpermute_b32 v2, v3, v2
	s_add_i32 s0, s0, -1
	s_cmp_lg_u32 s0, 0
	s_cbranch_scc1 .LBB101_1
; %bb.2:
	v_mov_b32_e32 v3, s3
	v_add_co_u32_e32 v0, vcc, s2, v0
	v_addc_co_u32_e32 v1, vcc, v3, v1, vcc
	s_waitcnt lgkmcnt(0)
	global_store_dword v[0:1], v2, off
	s_endpgm
	.section	.rodata,"a",@progbits
	.p2align	6, 0x0
	.amdhsa_kernel _Z6kernelI9broadcastiLj64ELj64ELj100EEvPKT0_PS1_S1_
		.amdhsa_group_segment_fixed_size 0
		.amdhsa_private_segment_fixed_size 0
		.amdhsa_kernarg_size 280
		.amdhsa_user_sgpr_count 6
		.amdhsa_user_sgpr_private_segment_buffer 1
		.amdhsa_user_sgpr_dispatch_ptr 0
		.amdhsa_user_sgpr_queue_ptr 0
		.amdhsa_user_sgpr_kernarg_segment_ptr 1
		.amdhsa_user_sgpr_dispatch_id 0
		.amdhsa_user_sgpr_flat_scratch_init 0
		.amdhsa_user_sgpr_private_segment_size 0
		.amdhsa_uses_dynamic_stack 0
		.amdhsa_system_sgpr_private_segment_wavefront_offset 0
		.amdhsa_system_sgpr_workgroup_id_x 1
		.amdhsa_system_sgpr_workgroup_id_y 0
		.amdhsa_system_sgpr_workgroup_id_z 0
		.amdhsa_system_sgpr_workgroup_info 0
		.amdhsa_system_vgpr_workitem_id 0
		.amdhsa_next_free_vgpr 4
		.amdhsa_next_free_sgpr 8
		.amdhsa_reserve_vcc 1
		.amdhsa_reserve_flat_scratch 0
		.amdhsa_float_round_mode_32 0
		.amdhsa_float_round_mode_16_64 0
		.amdhsa_float_denorm_mode_32 3
		.amdhsa_float_denorm_mode_16_64 3
		.amdhsa_dx10_clamp 1
		.amdhsa_ieee_mode 1
		.amdhsa_fp16_overflow 0
		.amdhsa_exception_fp_ieee_invalid_op 0
		.amdhsa_exception_fp_denorm_src 0
		.amdhsa_exception_fp_ieee_div_zero 0
		.amdhsa_exception_fp_ieee_overflow 0
		.amdhsa_exception_fp_ieee_underflow 0
		.amdhsa_exception_fp_ieee_inexact 0
		.amdhsa_exception_int_div_zero 0
	.end_amdhsa_kernel
	.section	.text._Z6kernelI9broadcastiLj64ELj64ELj100EEvPKT0_PS1_S1_,"axG",@progbits,_Z6kernelI9broadcastiLj64ELj64ELj100EEvPKT0_PS1_S1_,comdat
.Lfunc_end101:
	.size	_Z6kernelI9broadcastiLj64ELj64ELj100EEvPKT0_PS1_S1_, .Lfunc_end101-_Z6kernelI9broadcastiLj64ELj64ELj100EEvPKT0_PS1_S1_
                                        ; -- End function
	.set _Z6kernelI9broadcastiLj64ELj64ELj100EEvPKT0_PS1_S1_.num_vgpr, 4
	.set _Z6kernelI9broadcastiLj64ELj64ELj100EEvPKT0_PS1_S1_.num_agpr, 0
	.set _Z6kernelI9broadcastiLj64ELj64ELj100EEvPKT0_PS1_S1_.numbered_sgpr, 8
	.set _Z6kernelI9broadcastiLj64ELj64ELj100EEvPKT0_PS1_S1_.num_named_barrier, 0
	.set _Z6kernelI9broadcastiLj64ELj64ELj100EEvPKT0_PS1_S1_.private_seg_size, 0
	.set _Z6kernelI9broadcastiLj64ELj64ELj100EEvPKT0_PS1_S1_.uses_vcc, 1
	.set _Z6kernelI9broadcastiLj64ELj64ELj100EEvPKT0_PS1_S1_.uses_flat_scratch, 0
	.set _Z6kernelI9broadcastiLj64ELj64ELj100EEvPKT0_PS1_S1_.has_dyn_sized_stack, 0
	.set _Z6kernelI9broadcastiLj64ELj64ELj100EEvPKT0_PS1_S1_.has_recursion, 0
	.set _Z6kernelI9broadcastiLj64ELj64ELj100EEvPKT0_PS1_S1_.has_indirect_call, 0
	.section	.AMDGPU.csdata,"",@progbits
; Kernel info:
; codeLenInByte = 152
; TotalNumSgprs: 12
; NumVgprs: 4
; ScratchSize: 0
; MemoryBound: 0
; FloatMode: 240
; IeeeMode: 1
; LDSByteSize: 0 bytes/workgroup (compile time only)
; SGPRBlocks: 1
; VGPRBlocks: 0
; NumSGPRsForWavesPerEU: 12
; NumVGPRsForWavesPerEU: 4
; Occupancy: 10
; WaveLimiterHint : 0
; COMPUTE_PGM_RSRC2:SCRATCH_EN: 0
; COMPUTE_PGM_RSRC2:USER_SGPR: 6
; COMPUTE_PGM_RSRC2:TRAP_HANDLER: 0
; COMPUTE_PGM_RSRC2:TGID_X_EN: 1
; COMPUTE_PGM_RSRC2:TGID_Y_EN: 0
; COMPUTE_PGM_RSRC2:TGID_Z_EN: 0
; COMPUTE_PGM_RSRC2:TIDIG_COMP_CNT: 0
	.section	.text._Z6kernelI9broadcastiLj128ELj64ELj100EEvPKT0_PS1_S1_,"axG",@progbits,_Z6kernelI9broadcastiLj128ELj64ELj100EEvPKT0_PS1_S1_,comdat
	.protected	_Z6kernelI9broadcastiLj128ELj64ELj100EEvPKT0_PS1_S1_ ; -- Begin function _Z6kernelI9broadcastiLj128ELj64ELj100EEvPKT0_PS1_S1_
	.globl	_Z6kernelI9broadcastiLj128ELj64ELj100EEvPKT0_PS1_S1_
	.p2align	8
	.type	_Z6kernelI9broadcastiLj128ELj64ELj100EEvPKT0_PS1_S1_,@function
_Z6kernelI9broadcastiLj128ELj64ELj100EEvPKT0_PS1_S1_: ; @_Z6kernelI9broadcastiLj128ELj64ELj100EEvPKT0_PS1_S1_
; %bb.0:
	s_load_dword s7, s[4:5], 0x24
	s_load_dwordx4 s[0:3], s[4:5], 0x0
	v_mov_b32_e32 v1, 0
	s_waitcnt lgkmcnt(0)
	s_and_b32 s4, s7, 0xffff
	s_mul_i32 s6, s6, s4
	v_add_u32_e32 v0, s6, v0
	v_lshlrev_b64 v[0:1], 2, v[0:1]
	v_mov_b32_e32 v3, s1
	v_add_co_u32_e32 v2, vcc, s0, v0
	v_addc_co_u32_e32 v3, vcc, v3, v1, vcc
	global_load_dword v2, v[2:3], off
	v_mbcnt_lo_u32_b32 v3, -1, 0
	v_mbcnt_hi_u32_b32 v3, -1, v3
	v_lshlrev_b32_e32 v3, 2, v3
	v_and_b32_e32 v3, 0x100, v3
	s_movk_i32 s0, 0x64
.LBB102_1:                              ; =>This Inner Loop Header: Depth=1
	s_waitcnt vmcnt(0) lgkmcnt(0)
	ds_bpermute_b32 v2, v3, v2
	s_add_i32 s0, s0, -1
	s_cmp_lg_u32 s0, 0
	s_cbranch_scc1 .LBB102_1
; %bb.2:
	v_mov_b32_e32 v3, s3
	v_add_co_u32_e32 v0, vcc, s2, v0
	v_addc_co_u32_e32 v1, vcc, v3, v1, vcc
	s_waitcnt lgkmcnt(0)
	global_store_dword v[0:1], v2, off
	s_endpgm
	.section	.rodata,"a",@progbits
	.p2align	6, 0x0
	.amdhsa_kernel _Z6kernelI9broadcastiLj128ELj64ELj100EEvPKT0_PS1_S1_
		.amdhsa_group_segment_fixed_size 0
		.amdhsa_private_segment_fixed_size 0
		.amdhsa_kernarg_size 280
		.amdhsa_user_sgpr_count 6
		.amdhsa_user_sgpr_private_segment_buffer 1
		.amdhsa_user_sgpr_dispatch_ptr 0
		.amdhsa_user_sgpr_queue_ptr 0
		.amdhsa_user_sgpr_kernarg_segment_ptr 1
		.amdhsa_user_sgpr_dispatch_id 0
		.amdhsa_user_sgpr_flat_scratch_init 0
		.amdhsa_user_sgpr_private_segment_size 0
		.amdhsa_uses_dynamic_stack 0
		.amdhsa_system_sgpr_private_segment_wavefront_offset 0
		.amdhsa_system_sgpr_workgroup_id_x 1
		.amdhsa_system_sgpr_workgroup_id_y 0
		.amdhsa_system_sgpr_workgroup_id_z 0
		.amdhsa_system_sgpr_workgroup_info 0
		.amdhsa_system_vgpr_workitem_id 0
		.amdhsa_next_free_vgpr 4
		.amdhsa_next_free_sgpr 8
		.amdhsa_reserve_vcc 1
		.amdhsa_reserve_flat_scratch 0
		.amdhsa_float_round_mode_32 0
		.amdhsa_float_round_mode_16_64 0
		.amdhsa_float_denorm_mode_32 3
		.amdhsa_float_denorm_mode_16_64 3
		.amdhsa_dx10_clamp 1
		.amdhsa_ieee_mode 1
		.amdhsa_fp16_overflow 0
		.amdhsa_exception_fp_ieee_invalid_op 0
		.amdhsa_exception_fp_denorm_src 0
		.amdhsa_exception_fp_ieee_div_zero 0
		.amdhsa_exception_fp_ieee_overflow 0
		.amdhsa_exception_fp_ieee_underflow 0
		.amdhsa_exception_fp_ieee_inexact 0
		.amdhsa_exception_int_div_zero 0
	.end_amdhsa_kernel
	.section	.text._Z6kernelI9broadcastiLj128ELj64ELj100EEvPKT0_PS1_S1_,"axG",@progbits,_Z6kernelI9broadcastiLj128ELj64ELj100EEvPKT0_PS1_S1_,comdat
.Lfunc_end102:
	.size	_Z6kernelI9broadcastiLj128ELj64ELj100EEvPKT0_PS1_S1_, .Lfunc_end102-_Z6kernelI9broadcastiLj128ELj64ELj100EEvPKT0_PS1_S1_
                                        ; -- End function
	.set _Z6kernelI9broadcastiLj128ELj64ELj100EEvPKT0_PS1_S1_.num_vgpr, 4
	.set _Z6kernelI9broadcastiLj128ELj64ELj100EEvPKT0_PS1_S1_.num_agpr, 0
	.set _Z6kernelI9broadcastiLj128ELj64ELj100EEvPKT0_PS1_S1_.numbered_sgpr, 8
	.set _Z6kernelI9broadcastiLj128ELj64ELj100EEvPKT0_PS1_S1_.num_named_barrier, 0
	.set _Z6kernelI9broadcastiLj128ELj64ELj100EEvPKT0_PS1_S1_.private_seg_size, 0
	.set _Z6kernelI9broadcastiLj128ELj64ELj100EEvPKT0_PS1_S1_.uses_vcc, 1
	.set _Z6kernelI9broadcastiLj128ELj64ELj100EEvPKT0_PS1_S1_.uses_flat_scratch, 0
	.set _Z6kernelI9broadcastiLj128ELj64ELj100EEvPKT0_PS1_S1_.has_dyn_sized_stack, 0
	.set _Z6kernelI9broadcastiLj128ELj64ELj100EEvPKT0_PS1_S1_.has_recursion, 0
	.set _Z6kernelI9broadcastiLj128ELj64ELj100EEvPKT0_PS1_S1_.has_indirect_call, 0
	.section	.AMDGPU.csdata,"",@progbits
; Kernel info:
; codeLenInByte = 152
; TotalNumSgprs: 12
; NumVgprs: 4
; ScratchSize: 0
; MemoryBound: 0
; FloatMode: 240
; IeeeMode: 1
; LDSByteSize: 0 bytes/workgroup (compile time only)
; SGPRBlocks: 1
; VGPRBlocks: 0
; NumSGPRsForWavesPerEU: 12
; NumVGPRsForWavesPerEU: 4
; Occupancy: 10
; WaveLimiterHint : 0
; COMPUTE_PGM_RSRC2:SCRATCH_EN: 0
; COMPUTE_PGM_RSRC2:USER_SGPR: 6
; COMPUTE_PGM_RSRC2:TRAP_HANDLER: 0
; COMPUTE_PGM_RSRC2:TGID_X_EN: 1
; COMPUTE_PGM_RSRC2:TGID_Y_EN: 0
; COMPUTE_PGM_RSRC2:TGID_Z_EN: 0
; COMPUTE_PGM_RSRC2:TIDIG_COMP_CNT: 0
	.section	.text._Z6kernelI9broadcastiLj256ELj64ELj100EEvPKT0_PS1_S1_,"axG",@progbits,_Z6kernelI9broadcastiLj256ELj64ELj100EEvPKT0_PS1_S1_,comdat
	.protected	_Z6kernelI9broadcastiLj256ELj64ELj100EEvPKT0_PS1_S1_ ; -- Begin function _Z6kernelI9broadcastiLj256ELj64ELj100EEvPKT0_PS1_S1_
	.globl	_Z6kernelI9broadcastiLj256ELj64ELj100EEvPKT0_PS1_S1_
	.p2align	8
	.type	_Z6kernelI9broadcastiLj256ELj64ELj100EEvPKT0_PS1_S1_,@function
_Z6kernelI9broadcastiLj256ELj64ELj100EEvPKT0_PS1_S1_: ; @_Z6kernelI9broadcastiLj256ELj64ELj100EEvPKT0_PS1_S1_
; %bb.0:
	s_load_dword s7, s[4:5], 0x24
	s_load_dwordx4 s[0:3], s[4:5], 0x0
	v_mov_b32_e32 v1, 0
	s_waitcnt lgkmcnt(0)
	s_and_b32 s4, s7, 0xffff
	s_mul_i32 s6, s6, s4
	v_add_u32_e32 v0, s6, v0
	v_lshlrev_b64 v[0:1], 2, v[0:1]
	v_mov_b32_e32 v3, s1
	v_add_co_u32_e32 v2, vcc, s0, v0
	v_addc_co_u32_e32 v3, vcc, v3, v1, vcc
	global_load_dword v2, v[2:3], off
	v_mbcnt_lo_u32_b32 v3, -1, 0
	v_mbcnt_hi_u32_b32 v3, -1, v3
	v_lshlrev_b32_e32 v3, 2, v3
	v_and_b32_e32 v3, 0x100, v3
	s_movk_i32 s0, 0x64
.LBB103_1:                              ; =>This Inner Loop Header: Depth=1
	s_waitcnt vmcnt(0) lgkmcnt(0)
	ds_bpermute_b32 v2, v3, v2
	s_add_i32 s0, s0, -1
	s_cmp_lg_u32 s0, 0
	s_cbranch_scc1 .LBB103_1
; %bb.2:
	v_mov_b32_e32 v3, s3
	v_add_co_u32_e32 v0, vcc, s2, v0
	v_addc_co_u32_e32 v1, vcc, v3, v1, vcc
	s_waitcnt lgkmcnt(0)
	global_store_dword v[0:1], v2, off
	s_endpgm
	.section	.rodata,"a",@progbits
	.p2align	6, 0x0
	.amdhsa_kernel _Z6kernelI9broadcastiLj256ELj64ELj100EEvPKT0_PS1_S1_
		.amdhsa_group_segment_fixed_size 0
		.amdhsa_private_segment_fixed_size 0
		.amdhsa_kernarg_size 280
		.amdhsa_user_sgpr_count 6
		.amdhsa_user_sgpr_private_segment_buffer 1
		.amdhsa_user_sgpr_dispatch_ptr 0
		.amdhsa_user_sgpr_queue_ptr 0
		.amdhsa_user_sgpr_kernarg_segment_ptr 1
		.amdhsa_user_sgpr_dispatch_id 0
		.amdhsa_user_sgpr_flat_scratch_init 0
		.amdhsa_user_sgpr_private_segment_size 0
		.amdhsa_uses_dynamic_stack 0
		.amdhsa_system_sgpr_private_segment_wavefront_offset 0
		.amdhsa_system_sgpr_workgroup_id_x 1
		.amdhsa_system_sgpr_workgroup_id_y 0
		.amdhsa_system_sgpr_workgroup_id_z 0
		.amdhsa_system_sgpr_workgroup_info 0
		.amdhsa_system_vgpr_workitem_id 0
		.amdhsa_next_free_vgpr 4
		.amdhsa_next_free_sgpr 8
		.amdhsa_reserve_vcc 1
		.amdhsa_reserve_flat_scratch 0
		.amdhsa_float_round_mode_32 0
		.amdhsa_float_round_mode_16_64 0
		.amdhsa_float_denorm_mode_32 3
		.amdhsa_float_denorm_mode_16_64 3
		.amdhsa_dx10_clamp 1
		.amdhsa_ieee_mode 1
		.amdhsa_fp16_overflow 0
		.amdhsa_exception_fp_ieee_invalid_op 0
		.amdhsa_exception_fp_denorm_src 0
		.amdhsa_exception_fp_ieee_div_zero 0
		.amdhsa_exception_fp_ieee_overflow 0
		.amdhsa_exception_fp_ieee_underflow 0
		.amdhsa_exception_fp_ieee_inexact 0
		.amdhsa_exception_int_div_zero 0
	.end_amdhsa_kernel
	.section	.text._Z6kernelI9broadcastiLj256ELj64ELj100EEvPKT0_PS1_S1_,"axG",@progbits,_Z6kernelI9broadcastiLj256ELj64ELj100EEvPKT0_PS1_S1_,comdat
.Lfunc_end103:
	.size	_Z6kernelI9broadcastiLj256ELj64ELj100EEvPKT0_PS1_S1_, .Lfunc_end103-_Z6kernelI9broadcastiLj256ELj64ELj100EEvPKT0_PS1_S1_
                                        ; -- End function
	.set _Z6kernelI9broadcastiLj256ELj64ELj100EEvPKT0_PS1_S1_.num_vgpr, 4
	.set _Z6kernelI9broadcastiLj256ELj64ELj100EEvPKT0_PS1_S1_.num_agpr, 0
	.set _Z6kernelI9broadcastiLj256ELj64ELj100EEvPKT0_PS1_S1_.numbered_sgpr, 8
	.set _Z6kernelI9broadcastiLj256ELj64ELj100EEvPKT0_PS1_S1_.num_named_barrier, 0
	.set _Z6kernelI9broadcastiLj256ELj64ELj100EEvPKT0_PS1_S1_.private_seg_size, 0
	.set _Z6kernelI9broadcastiLj256ELj64ELj100EEvPKT0_PS1_S1_.uses_vcc, 1
	.set _Z6kernelI9broadcastiLj256ELj64ELj100EEvPKT0_PS1_S1_.uses_flat_scratch, 0
	.set _Z6kernelI9broadcastiLj256ELj64ELj100EEvPKT0_PS1_S1_.has_dyn_sized_stack, 0
	.set _Z6kernelI9broadcastiLj256ELj64ELj100EEvPKT0_PS1_S1_.has_recursion, 0
	.set _Z6kernelI9broadcastiLj256ELj64ELj100EEvPKT0_PS1_S1_.has_indirect_call, 0
	.section	.AMDGPU.csdata,"",@progbits
; Kernel info:
; codeLenInByte = 152
; TotalNumSgprs: 12
; NumVgprs: 4
; ScratchSize: 0
; MemoryBound: 0
; FloatMode: 240
; IeeeMode: 1
; LDSByteSize: 0 bytes/workgroup (compile time only)
; SGPRBlocks: 1
; VGPRBlocks: 0
; NumSGPRsForWavesPerEU: 12
; NumVGPRsForWavesPerEU: 4
; Occupancy: 10
; WaveLimiterHint : 0
; COMPUTE_PGM_RSRC2:SCRATCH_EN: 0
; COMPUTE_PGM_RSRC2:USER_SGPR: 6
; COMPUTE_PGM_RSRC2:TRAP_HANDLER: 0
; COMPUTE_PGM_RSRC2:TGID_X_EN: 1
; COMPUTE_PGM_RSRC2:TGID_Y_EN: 0
; COMPUTE_PGM_RSRC2:TGID_Z_EN: 0
; COMPUTE_PGM_RSRC2:TIDIG_COMP_CNT: 0
	.section	.text._Z6kernelI9broadcastfLj60ELj15ELj100EEvPKT0_PS1_S1_,"axG",@progbits,_Z6kernelI9broadcastfLj60ELj15ELj100EEvPKT0_PS1_S1_,comdat
	.protected	_Z6kernelI9broadcastfLj60ELj15ELj100EEvPKT0_PS1_S1_ ; -- Begin function _Z6kernelI9broadcastfLj60ELj15ELj100EEvPKT0_PS1_S1_
	.globl	_Z6kernelI9broadcastfLj60ELj15ELj100EEvPKT0_PS1_S1_
	.p2align	8
	.type	_Z6kernelI9broadcastfLj60ELj15ELj100EEvPKT0_PS1_S1_,@function
_Z6kernelI9broadcastfLj60ELj15ELj100EEvPKT0_PS1_S1_: ; @_Z6kernelI9broadcastfLj60ELj15ELj100EEvPKT0_PS1_S1_
; %bb.0:
	s_load_dword s7, s[4:5], 0x24
	s_load_dwordx4 s[0:3], s[4:5], 0x0
	v_mov_b32_e32 v1, 0
	s_waitcnt lgkmcnt(0)
	s_and_b32 s4, s7, 0xffff
	s_mul_i32 s6, s6, s4
	v_add_u32_e32 v0, s6, v0
	v_lshlrev_b64 v[2:3], 2, v[0:1]
	v_mov_b32_e32 v0, s1
	v_add_co_u32_e32 v4, vcc, s0, v2
	v_addc_co_u32_e32 v5, vcc, v0, v3, vcc
	global_load_dword v0, v[4:5], off
	v_mbcnt_lo_u32_b32 v4, -1, 0
	v_mbcnt_hi_u32_b32 v4, -1, v4
	s_mov_b32 s0, 0xeeeeeeef
	v_mul_lo_u32 v4, v4, s0
	s_mov_b32 s0, 0x11111112
	s_movk_i32 s4, 0x64
	v_cmp_gt_u32_e32 vcc, s0, v4
	s_branch .LBB104_2
.LBB104_1:                              ;   in Loop: Header=BB104_2 Depth=1
	s_or_b64 exec, exec, s[0:1]
	; wave barrier
	s_waitcnt vmcnt(0) lgkmcnt(0)
	ds_read_b32 v0, v1
	s_add_i32 s4, s4, -1
	s_cmp_lg_u32 s4, 0
	s_cbranch_scc0 .LBB104_4
.LBB104_2:                              ; =>This Inner Loop Header: Depth=1
	s_and_saveexec_b64 s[0:1], vcc
	s_cbranch_execz .LBB104_1
; %bb.3:                                ;   in Loop: Header=BB104_2 Depth=1
	s_waitcnt vmcnt(0) lgkmcnt(0)
	ds_write_b32 v1, v0
	s_branch .LBB104_1
.LBB104_4:
	v_mov_b32_e32 v4, s3
	v_add_co_u32_e32 v1, vcc, s2, v2
	v_addc_co_u32_e32 v2, vcc, v4, v3, vcc
	s_waitcnt lgkmcnt(0)
	global_store_dword v[1:2], v0, off
	s_endpgm
	.section	.rodata,"a",@progbits
	.p2align	6, 0x0
	.amdhsa_kernel _Z6kernelI9broadcastfLj60ELj15ELj100EEvPKT0_PS1_S1_
		.amdhsa_group_segment_fixed_size 60
		.amdhsa_private_segment_fixed_size 0
		.amdhsa_kernarg_size 280
		.amdhsa_user_sgpr_count 6
		.amdhsa_user_sgpr_private_segment_buffer 1
		.amdhsa_user_sgpr_dispatch_ptr 0
		.amdhsa_user_sgpr_queue_ptr 0
		.amdhsa_user_sgpr_kernarg_segment_ptr 1
		.amdhsa_user_sgpr_dispatch_id 0
		.amdhsa_user_sgpr_flat_scratch_init 0
		.amdhsa_user_sgpr_private_segment_size 0
		.amdhsa_uses_dynamic_stack 0
		.amdhsa_system_sgpr_private_segment_wavefront_offset 0
		.amdhsa_system_sgpr_workgroup_id_x 1
		.amdhsa_system_sgpr_workgroup_id_y 0
		.amdhsa_system_sgpr_workgroup_id_z 0
		.amdhsa_system_sgpr_workgroup_info 0
		.amdhsa_system_vgpr_workitem_id 0
		.amdhsa_next_free_vgpr 6
		.amdhsa_next_free_sgpr 8
		.amdhsa_reserve_vcc 1
		.amdhsa_reserve_flat_scratch 0
		.amdhsa_float_round_mode_32 0
		.amdhsa_float_round_mode_16_64 0
		.amdhsa_float_denorm_mode_32 3
		.amdhsa_float_denorm_mode_16_64 3
		.amdhsa_dx10_clamp 1
		.amdhsa_ieee_mode 1
		.amdhsa_fp16_overflow 0
		.amdhsa_exception_fp_ieee_invalid_op 0
		.amdhsa_exception_fp_denorm_src 0
		.amdhsa_exception_fp_ieee_div_zero 0
		.amdhsa_exception_fp_ieee_overflow 0
		.amdhsa_exception_fp_ieee_underflow 0
		.amdhsa_exception_fp_ieee_inexact 0
		.amdhsa_exception_int_div_zero 0
	.end_amdhsa_kernel
	.section	.text._Z6kernelI9broadcastfLj60ELj15ELj100EEvPKT0_PS1_S1_,"axG",@progbits,_Z6kernelI9broadcastfLj60ELj15ELj100EEvPKT0_PS1_S1_,comdat
.Lfunc_end104:
	.size	_Z6kernelI9broadcastfLj60ELj15ELj100EEvPKT0_PS1_S1_, .Lfunc_end104-_Z6kernelI9broadcastfLj60ELj15ELj100EEvPKT0_PS1_S1_
                                        ; -- End function
	.set _Z6kernelI9broadcastfLj60ELj15ELj100EEvPKT0_PS1_S1_.num_vgpr, 6
	.set _Z6kernelI9broadcastfLj60ELj15ELj100EEvPKT0_PS1_S1_.num_agpr, 0
	.set _Z6kernelI9broadcastfLj60ELj15ELj100EEvPKT0_PS1_S1_.numbered_sgpr, 8
	.set _Z6kernelI9broadcastfLj60ELj15ELj100EEvPKT0_PS1_S1_.num_named_barrier, 0
	.set _Z6kernelI9broadcastfLj60ELj15ELj100EEvPKT0_PS1_S1_.private_seg_size, 0
	.set _Z6kernelI9broadcastfLj60ELj15ELj100EEvPKT0_PS1_S1_.uses_vcc, 1
	.set _Z6kernelI9broadcastfLj60ELj15ELj100EEvPKT0_PS1_S1_.uses_flat_scratch, 0
	.set _Z6kernelI9broadcastfLj60ELj15ELj100EEvPKT0_PS1_S1_.has_dyn_sized_stack, 0
	.set _Z6kernelI9broadcastfLj60ELj15ELj100EEvPKT0_PS1_S1_.has_recursion, 0
	.set _Z6kernelI9broadcastfLj60ELj15ELj100EEvPKT0_PS1_S1_.has_indirect_call, 0
	.section	.AMDGPU.csdata,"",@progbits
; Kernel info:
; codeLenInByte = 200
; TotalNumSgprs: 12
; NumVgprs: 6
; ScratchSize: 0
; MemoryBound: 0
; FloatMode: 240
; IeeeMode: 1
; LDSByteSize: 60 bytes/workgroup (compile time only)
; SGPRBlocks: 1
; VGPRBlocks: 1
; NumSGPRsForWavesPerEU: 12
; NumVGPRsForWavesPerEU: 6
; Occupancy: 10
; WaveLimiterHint : 0
; COMPUTE_PGM_RSRC2:SCRATCH_EN: 0
; COMPUTE_PGM_RSRC2:USER_SGPR: 6
; COMPUTE_PGM_RSRC2:TRAP_HANDLER: 0
; COMPUTE_PGM_RSRC2:TGID_X_EN: 1
; COMPUTE_PGM_RSRC2:TGID_Y_EN: 0
; COMPUTE_PGM_RSRC2:TGID_Z_EN: 0
; COMPUTE_PGM_RSRC2:TIDIG_COMP_CNT: 0
	.section	.text._Z6kernelI9broadcastfLj256ELj16ELj100EEvPKT0_PS1_S1_,"axG",@progbits,_Z6kernelI9broadcastfLj256ELj16ELj100EEvPKT0_PS1_S1_,comdat
	.protected	_Z6kernelI9broadcastfLj256ELj16ELj100EEvPKT0_PS1_S1_ ; -- Begin function _Z6kernelI9broadcastfLj256ELj16ELj100EEvPKT0_PS1_S1_
	.globl	_Z6kernelI9broadcastfLj256ELj16ELj100EEvPKT0_PS1_S1_
	.p2align	8
	.type	_Z6kernelI9broadcastfLj256ELj16ELj100EEvPKT0_PS1_S1_,@function
_Z6kernelI9broadcastfLj256ELj16ELj100EEvPKT0_PS1_S1_: ; @_Z6kernelI9broadcastfLj256ELj16ELj100EEvPKT0_PS1_S1_
; %bb.0:
	s_load_dword s7, s[4:5], 0x24
	s_load_dwordx4 s[0:3], s[4:5], 0x0
	v_mov_b32_e32 v1, 0
	s_waitcnt lgkmcnt(0)
	s_and_b32 s4, s7, 0xffff
	s_mul_i32 s6, s6, s4
	v_add_u32_e32 v0, s6, v0
	v_lshlrev_b64 v[0:1], 2, v[0:1]
	v_mov_b32_e32 v3, s1
	v_add_co_u32_e32 v2, vcc, s0, v0
	v_addc_co_u32_e32 v3, vcc, v3, v1, vcc
	global_load_dword v2, v[2:3], off
	v_mbcnt_lo_u32_b32 v3, -1, 0
	v_mbcnt_hi_u32_b32 v3, -1, v3
	v_lshlrev_b32_e32 v3, 2, v3
	v_and_b32_e32 v3, 0x1c0, v3
	s_movk_i32 s0, 0x64
.LBB105_1:                              ; =>This Inner Loop Header: Depth=1
	s_waitcnt vmcnt(0) lgkmcnt(0)
	ds_bpermute_b32 v2, v3, v2
	s_add_i32 s0, s0, -1
	s_cmp_lg_u32 s0, 0
	s_cbranch_scc1 .LBB105_1
; %bb.2:
	v_mov_b32_e32 v3, s3
	v_add_co_u32_e32 v0, vcc, s2, v0
	v_addc_co_u32_e32 v1, vcc, v3, v1, vcc
	s_waitcnt lgkmcnt(0)
	global_store_dword v[0:1], v2, off
	s_endpgm
	.section	.rodata,"a",@progbits
	.p2align	6, 0x0
	.amdhsa_kernel _Z6kernelI9broadcastfLj256ELj16ELj100EEvPKT0_PS1_S1_
		.amdhsa_group_segment_fixed_size 0
		.amdhsa_private_segment_fixed_size 0
		.amdhsa_kernarg_size 280
		.amdhsa_user_sgpr_count 6
		.amdhsa_user_sgpr_private_segment_buffer 1
		.amdhsa_user_sgpr_dispatch_ptr 0
		.amdhsa_user_sgpr_queue_ptr 0
		.amdhsa_user_sgpr_kernarg_segment_ptr 1
		.amdhsa_user_sgpr_dispatch_id 0
		.amdhsa_user_sgpr_flat_scratch_init 0
		.amdhsa_user_sgpr_private_segment_size 0
		.amdhsa_uses_dynamic_stack 0
		.amdhsa_system_sgpr_private_segment_wavefront_offset 0
		.amdhsa_system_sgpr_workgroup_id_x 1
		.amdhsa_system_sgpr_workgroup_id_y 0
		.amdhsa_system_sgpr_workgroup_id_z 0
		.amdhsa_system_sgpr_workgroup_info 0
		.amdhsa_system_vgpr_workitem_id 0
		.amdhsa_next_free_vgpr 4
		.amdhsa_next_free_sgpr 8
		.amdhsa_reserve_vcc 1
		.amdhsa_reserve_flat_scratch 0
		.amdhsa_float_round_mode_32 0
		.amdhsa_float_round_mode_16_64 0
		.amdhsa_float_denorm_mode_32 3
		.amdhsa_float_denorm_mode_16_64 3
		.amdhsa_dx10_clamp 1
		.amdhsa_ieee_mode 1
		.amdhsa_fp16_overflow 0
		.amdhsa_exception_fp_ieee_invalid_op 0
		.amdhsa_exception_fp_denorm_src 0
		.amdhsa_exception_fp_ieee_div_zero 0
		.amdhsa_exception_fp_ieee_overflow 0
		.amdhsa_exception_fp_ieee_underflow 0
		.amdhsa_exception_fp_ieee_inexact 0
		.amdhsa_exception_int_div_zero 0
	.end_amdhsa_kernel
	.section	.text._Z6kernelI9broadcastfLj256ELj16ELj100EEvPKT0_PS1_S1_,"axG",@progbits,_Z6kernelI9broadcastfLj256ELj16ELj100EEvPKT0_PS1_S1_,comdat
.Lfunc_end105:
	.size	_Z6kernelI9broadcastfLj256ELj16ELj100EEvPKT0_PS1_S1_, .Lfunc_end105-_Z6kernelI9broadcastfLj256ELj16ELj100EEvPKT0_PS1_S1_
                                        ; -- End function
	.set _Z6kernelI9broadcastfLj256ELj16ELj100EEvPKT0_PS1_S1_.num_vgpr, 4
	.set _Z6kernelI9broadcastfLj256ELj16ELj100EEvPKT0_PS1_S1_.num_agpr, 0
	.set _Z6kernelI9broadcastfLj256ELj16ELj100EEvPKT0_PS1_S1_.numbered_sgpr, 8
	.set _Z6kernelI9broadcastfLj256ELj16ELj100EEvPKT0_PS1_S1_.num_named_barrier, 0
	.set _Z6kernelI9broadcastfLj256ELj16ELj100EEvPKT0_PS1_S1_.private_seg_size, 0
	.set _Z6kernelI9broadcastfLj256ELj16ELj100EEvPKT0_PS1_S1_.uses_vcc, 1
	.set _Z6kernelI9broadcastfLj256ELj16ELj100EEvPKT0_PS1_S1_.uses_flat_scratch, 0
	.set _Z6kernelI9broadcastfLj256ELj16ELj100EEvPKT0_PS1_S1_.has_dyn_sized_stack, 0
	.set _Z6kernelI9broadcastfLj256ELj16ELj100EEvPKT0_PS1_S1_.has_recursion, 0
	.set _Z6kernelI9broadcastfLj256ELj16ELj100EEvPKT0_PS1_S1_.has_indirect_call, 0
	.section	.AMDGPU.csdata,"",@progbits
; Kernel info:
; codeLenInByte = 152
; TotalNumSgprs: 12
; NumVgprs: 4
; ScratchSize: 0
; MemoryBound: 0
; FloatMode: 240
; IeeeMode: 1
; LDSByteSize: 0 bytes/workgroup (compile time only)
; SGPRBlocks: 1
; VGPRBlocks: 0
; NumSGPRsForWavesPerEU: 12
; NumVGPRsForWavesPerEU: 4
; Occupancy: 10
; WaveLimiterHint : 0
; COMPUTE_PGM_RSRC2:SCRATCH_EN: 0
; COMPUTE_PGM_RSRC2:USER_SGPR: 6
; COMPUTE_PGM_RSRC2:TRAP_HANDLER: 0
; COMPUTE_PGM_RSRC2:TGID_X_EN: 1
; COMPUTE_PGM_RSRC2:TGID_Y_EN: 0
; COMPUTE_PGM_RSRC2:TGID_Z_EN: 0
; COMPUTE_PGM_RSRC2:TIDIG_COMP_CNT: 0
	.section	.text._Z6kernelI9broadcastfLj62ELj31ELj100EEvPKT0_PS1_S1_,"axG",@progbits,_Z6kernelI9broadcastfLj62ELj31ELj100EEvPKT0_PS1_S1_,comdat
	.protected	_Z6kernelI9broadcastfLj62ELj31ELj100EEvPKT0_PS1_S1_ ; -- Begin function _Z6kernelI9broadcastfLj62ELj31ELj100EEvPKT0_PS1_S1_
	.globl	_Z6kernelI9broadcastfLj62ELj31ELj100EEvPKT0_PS1_S1_
	.p2align	8
	.type	_Z6kernelI9broadcastfLj62ELj31ELj100EEvPKT0_PS1_S1_,@function
_Z6kernelI9broadcastfLj62ELj31ELj100EEvPKT0_PS1_S1_: ; @_Z6kernelI9broadcastfLj62ELj31ELj100EEvPKT0_PS1_S1_
; %bb.0:
	s_load_dword s7, s[4:5], 0x24
	s_load_dwordx4 s[0:3], s[4:5], 0x0
	v_mov_b32_e32 v1, 0
	s_waitcnt lgkmcnt(0)
	s_and_b32 s4, s7, 0xffff
	s_mul_i32 s6, s6, s4
	v_add_u32_e32 v0, s6, v0
	v_lshlrev_b64 v[2:3], 2, v[0:1]
	v_mov_b32_e32 v0, s1
	v_add_co_u32_e32 v4, vcc, s0, v2
	v_addc_co_u32_e32 v5, vcc, v0, v3, vcc
	global_load_dword v0, v[4:5], off
	v_mbcnt_lo_u32_b32 v4, -1, 0
	v_mbcnt_hi_u32_b32 v4, -1, v4
	s_mov_b32 s0, 0xbdef7bdf
	v_mul_lo_u32 v4, v4, s0
	s_mov_b32 s0, 0x8421085
	s_movk_i32 s4, 0x64
	v_cmp_gt_u32_e32 vcc, s0, v4
	s_branch .LBB106_2
.LBB106_1:                              ;   in Loop: Header=BB106_2 Depth=1
	s_or_b64 exec, exec, s[0:1]
	; wave barrier
	s_waitcnt vmcnt(0) lgkmcnt(0)
	ds_read_b32 v0, v1
	s_add_i32 s4, s4, -1
	s_cmp_lg_u32 s4, 0
	s_cbranch_scc0 .LBB106_4
.LBB106_2:                              ; =>This Inner Loop Header: Depth=1
	s_and_saveexec_b64 s[0:1], vcc
	s_cbranch_execz .LBB106_1
; %bb.3:                                ;   in Loop: Header=BB106_2 Depth=1
	s_waitcnt vmcnt(0) lgkmcnt(0)
	ds_write_b32 v1, v0
	s_branch .LBB106_1
.LBB106_4:
	v_mov_b32_e32 v4, s3
	v_add_co_u32_e32 v1, vcc, s2, v2
	v_addc_co_u32_e32 v2, vcc, v4, v3, vcc
	s_waitcnt lgkmcnt(0)
	global_store_dword v[1:2], v0, off
	s_endpgm
	.section	.rodata,"a",@progbits
	.p2align	6, 0x0
	.amdhsa_kernel _Z6kernelI9broadcastfLj62ELj31ELj100EEvPKT0_PS1_S1_
		.amdhsa_group_segment_fixed_size 124
		.amdhsa_private_segment_fixed_size 0
		.amdhsa_kernarg_size 280
		.amdhsa_user_sgpr_count 6
		.amdhsa_user_sgpr_private_segment_buffer 1
		.amdhsa_user_sgpr_dispatch_ptr 0
		.amdhsa_user_sgpr_queue_ptr 0
		.amdhsa_user_sgpr_kernarg_segment_ptr 1
		.amdhsa_user_sgpr_dispatch_id 0
		.amdhsa_user_sgpr_flat_scratch_init 0
		.amdhsa_user_sgpr_private_segment_size 0
		.amdhsa_uses_dynamic_stack 0
		.amdhsa_system_sgpr_private_segment_wavefront_offset 0
		.amdhsa_system_sgpr_workgroup_id_x 1
		.amdhsa_system_sgpr_workgroup_id_y 0
		.amdhsa_system_sgpr_workgroup_id_z 0
		.amdhsa_system_sgpr_workgroup_info 0
		.amdhsa_system_vgpr_workitem_id 0
		.amdhsa_next_free_vgpr 6
		.amdhsa_next_free_sgpr 8
		.amdhsa_reserve_vcc 1
		.amdhsa_reserve_flat_scratch 0
		.amdhsa_float_round_mode_32 0
		.amdhsa_float_round_mode_16_64 0
		.amdhsa_float_denorm_mode_32 3
		.amdhsa_float_denorm_mode_16_64 3
		.amdhsa_dx10_clamp 1
		.amdhsa_ieee_mode 1
		.amdhsa_fp16_overflow 0
		.amdhsa_exception_fp_ieee_invalid_op 0
		.amdhsa_exception_fp_denorm_src 0
		.amdhsa_exception_fp_ieee_div_zero 0
		.amdhsa_exception_fp_ieee_overflow 0
		.amdhsa_exception_fp_ieee_underflow 0
		.amdhsa_exception_fp_ieee_inexact 0
		.amdhsa_exception_int_div_zero 0
	.end_amdhsa_kernel
	.section	.text._Z6kernelI9broadcastfLj62ELj31ELj100EEvPKT0_PS1_S1_,"axG",@progbits,_Z6kernelI9broadcastfLj62ELj31ELj100EEvPKT0_PS1_S1_,comdat
.Lfunc_end106:
	.size	_Z6kernelI9broadcastfLj62ELj31ELj100EEvPKT0_PS1_S1_, .Lfunc_end106-_Z6kernelI9broadcastfLj62ELj31ELj100EEvPKT0_PS1_S1_
                                        ; -- End function
	.set _Z6kernelI9broadcastfLj62ELj31ELj100EEvPKT0_PS1_S1_.num_vgpr, 6
	.set _Z6kernelI9broadcastfLj62ELj31ELj100EEvPKT0_PS1_S1_.num_agpr, 0
	.set _Z6kernelI9broadcastfLj62ELj31ELj100EEvPKT0_PS1_S1_.numbered_sgpr, 8
	.set _Z6kernelI9broadcastfLj62ELj31ELj100EEvPKT0_PS1_S1_.num_named_barrier, 0
	.set _Z6kernelI9broadcastfLj62ELj31ELj100EEvPKT0_PS1_S1_.private_seg_size, 0
	.set _Z6kernelI9broadcastfLj62ELj31ELj100EEvPKT0_PS1_S1_.uses_vcc, 1
	.set _Z6kernelI9broadcastfLj62ELj31ELj100EEvPKT0_PS1_S1_.uses_flat_scratch, 0
	.set _Z6kernelI9broadcastfLj62ELj31ELj100EEvPKT0_PS1_S1_.has_dyn_sized_stack, 0
	.set _Z6kernelI9broadcastfLj62ELj31ELj100EEvPKT0_PS1_S1_.has_recursion, 0
	.set _Z6kernelI9broadcastfLj62ELj31ELj100EEvPKT0_PS1_S1_.has_indirect_call, 0
	.section	.AMDGPU.csdata,"",@progbits
; Kernel info:
; codeLenInByte = 200
; TotalNumSgprs: 12
; NumVgprs: 6
; ScratchSize: 0
; MemoryBound: 0
; FloatMode: 240
; IeeeMode: 1
; LDSByteSize: 124 bytes/workgroup (compile time only)
; SGPRBlocks: 1
; VGPRBlocks: 1
; NumSGPRsForWavesPerEU: 12
; NumVGPRsForWavesPerEU: 6
; Occupancy: 10
; WaveLimiterHint : 0
; COMPUTE_PGM_RSRC2:SCRATCH_EN: 0
; COMPUTE_PGM_RSRC2:USER_SGPR: 6
; COMPUTE_PGM_RSRC2:TRAP_HANDLER: 0
; COMPUTE_PGM_RSRC2:TGID_X_EN: 1
; COMPUTE_PGM_RSRC2:TGID_Y_EN: 0
; COMPUTE_PGM_RSRC2:TGID_Z_EN: 0
; COMPUTE_PGM_RSRC2:TIDIG_COMP_CNT: 0
	.section	.text._Z6kernelI9broadcastfLj256ELj32ELj100EEvPKT0_PS1_S1_,"axG",@progbits,_Z6kernelI9broadcastfLj256ELj32ELj100EEvPKT0_PS1_S1_,comdat
	.protected	_Z6kernelI9broadcastfLj256ELj32ELj100EEvPKT0_PS1_S1_ ; -- Begin function _Z6kernelI9broadcastfLj256ELj32ELj100EEvPKT0_PS1_S1_
	.globl	_Z6kernelI9broadcastfLj256ELj32ELj100EEvPKT0_PS1_S1_
	.p2align	8
	.type	_Z6kernelI9broadcastfLj256ELj32ELj100EEvPKT0_PS1_S1_,@function
_Z6kernelI9broadcastfLj256ELj32ELj100EEvPKT0_PS1_S1_: ; @_Z6kernelI9broadcastfLj256ELj32ELj100EEvPKT0_PS1_S1_
; %bb.0:
	s_load_dword s7, s[4:5], 0x24
	s_load_dwordx4 s[0:3], s[4:5], 0x0
	v_mov_b32_e32 v1, 0
	s_waitcnt lgkmcnt(0)
	s_and_b32 s4, s7, 0xffff
	s_mul_i32 s6, s6, s4
	v_add_u32_e32 v0, s6, v0
	v_lshlrev_b64 v[0:1], 2, v[0:1]
	v_mov_b32_e32 v3, s1
	v_add_co_u32_e32 v2, vcc, s0, v0
	v_addc_co_u32_e32 v3, vcc, v3, v1, vcc
	global_load_dword v2, v[2:3], off
	v_mbcnt_lo_u32_b32 v3, -1, 0
	v_mbcnt_hi_u32_b32 v3, -1, v3
	v_lshlrev_b32_e32 v3, 2, v3
	v_and_b32_e32 v3, 0x180, v3
	s_movk_i32 s0, 0x64
.LBB107_1:                              ; =>This Inner Loop Header: Depth=1
	s_waitcnt vmcnt(0) lgkmcnt(0)
	ds_bpermute_b32 v2, v3, v2
	s_add_i32 s0, s0, -1
	s_cmp_lg_u32 s0, 0
	s_cbranch_scc1 .LBB107_1
; %bb.2:
	v_mov_b32_e32 v3, s3
	v_add_co_u32_e32 v0, vcc, s2, v0
	v_addc_co_u32_e32 v1, vcc, v3, v1, vcc
	s_waitcnt lgkmcnt(0)
	global_store_dword v[0:1], v2, off
	s_endpgm
	.section	.rodata,"a",@progbits
	.p2align	6, 0x0
	.amdhsa_kernel _Z6kernelI9broadcastfLj256ELj32ELj100EEvPKT0_PS1_S1_
		.amdhsa_group_segment_fixed_size 0
		.amdhsa_private_segment_fixed_size 0
		.amdhsa_kernarg_size 280
		.amdhsa_user_sgpr_count 6
		.amdhsa_user_sgpr_private_segment_buffer 1
		.amdhsa_user_sgpr_dispatch_ptr 0
		.amdhsa_user_sgpr_queue_ptr 0
		.amdhsa_user_sgpr_kernarg_segment_ptr 1
		.amdhsa_user_sgpr_dispatch_id 0
		.amdhsa_user_sgpr_flat_scratch_init 0
		.amdhsa_user_sgpr_private_segment_size 0
		.amdhsa_uses_dynamic_stack 0
		.amdhsa_system_sgpr_private_segment_wavefront_offset 0
		.amdhsa_system_sgpr_workgroup_id_x 1
		.amdhsa_system_sgpr_workgroup_id_y 0
		.amdhsa_system_sgpr_workgroup_id_z 0
		.amdhsa_system_sgpr_workgroup_info 0
		.amdhsa_system_vgpr_workitem_id 0
		.amdhsa_next_free_vgpr 4
		.amdhsa_next_free_sgpr 8
		.amdhsa_reserve_vcc 1
		.amdhsa_reserve_flat_scratch 0
		.amdhsa_float_round_mode_32 0
		.amdhsa_float_round_mode_16_64 0
		.amdhsa_float_denorm_mode_32 3
		.amdhsa_float_denorm_mode_16_64 3
		.amdhsa_dx10_clamp 1
		.amdhsa_ieee_mode 1
		.amdhsa_fp16_overflow 0
		.amdhsa_exception_fp_ieee_invalid_op 0
		.amdhsa_exception_fp_denorm_src 0
		.amdhsa_exception_fp_ieee_div_zero 0
		.amdhsa_exception_fp_ieee_overflow 0
		.amdhsa_exception_fp_ieee_underflow 0
		.amdhsa_exception_fp_ieee_inexact 0
		.amdhsa_exception_int_div_zero 0
	.end_amdhsa_kernel
	.section	.text._Z6kernelI9broadcastfLj256ELj32ELj100EEvPKT0_PS1_S1_,"axG",@progbits,_Z6kernelI9broadcastfLj256ELj32ELj100EEvPKT0_PS1_S1_,comdat
.Lfunc_end107:
	.size	_Z6kernelI9broadcastfLj256ELj32ELj100EEvPKT0_PS1_S1_, .Lfunc_end107-_Z6kernelI9broadcastfLj256ELj32ELj100EEvPKT0_PS1_S1_
                                        ; -- End function
	.set _Z6kernelI9broadcastfLj256ELj32ELj100EEvPKT0_PS1_S1_.num_vgpr, 4
	.set _Z6kernelI9broadcastfLj256ELj32ELj100EEvPKT0_PS1_S1_.num_agpr, 0
	.set _Z6kernelI9broadcastfLj256ELj32ELj100EEvPKT0_PS1_S1_.numbered_sgpr, 8
	.set _Z6kernelI9broadcastfLj256ELj32ELj100EEvPKT0_PS1_S1_.num_named_barrier, 0
	.set _Z6kernelI9broadcastfLj256ELj32ELj100EEvPKT0_PS1_S1_.private_seg_size, 0
	.set _Z6kernelI9broadcastfLj256ELj32ELj100EEvPKT0_PS1_S1_.uses_vcc, 1
	.set _Z6kernelI9broadcastfLj256ELj32ELj100EEvPKT0_PS1_S1_.uses_flat_scratch, 0
	.set _Z6kernelI9broadcastfLj256ELj32ELj100EEvPKT0_PS1_S1_.has_dyn_sized_stack, 0
	.set _Z6kernelI9broadcastfLj256ELj32ELj100EEvPKT0_PS1_S1_.has_recursion, 0
	.set _Z6kernelI9broadcastfLj256ELj32ELj100EEvPKT0_PS1_S1_.has_indirect_call, 0
	.section	.AMDGPU.csdata,"",@progbits
; Kernel info:
; codeLenInByte = 152
; TotalNumSgprs: 12
; NumVgprs: 4
; ScratchSize: 0
; MemoryBound: 0
; FloatMode: 240
; IeeeMode: 1
; LDSByteSize: 0 bytes/workgroup (compile time only)
; SGPRBlocks: 1
; VGPRBlocks: 0
; NumSGPRsForWavesPerEU: 12
; NumVGPRsForWavesPerEU: 4
; Occupancy: 10
; WaveLimiterHint : 0
; COMPUTE_PGM_RSRC2:SCRATCH_EN: 0
; COMPUTE_PGM_RSRC2:USER_SGPR: 6
; COMPUTE_PGM_RSRC2:TRAP_HANDLER: 0
; COMPUTE_PGM_RSRC2:TGID_X_EN: 1
; COMPUTE_PGM_RSRC2:TGID_Y_EN: 0
; COMPUTE_PGM_RSRC2:TGID_Z_EN: 0
; COMPUTE_PGM_RSRC2:TIDIG_COMP_CNT: 0
	.section	.text._Z6kernelI9broadcastfLj63ELj63ELj100EEvPKT0_PS1_S1_,"axG",@progbits,_Z6kernelI9broadcastfLj63ELj63ELj100EEvPKT0_PS1_S1_,comdat
	.protected	_Z6kernelI9broadcastfLj63ELj63ELj100EEvPKT0_PS1_S1_ ; -- Begin function _Z6kernelI9broadcastfLj63ELj63ELj100EEvPKT0_PS1_S1_
	.globl	_Z6kernelI9broadcastfLj63ELj63ELj100EEvPKT0_PS1_S1_
	.p2align	8
	.type	_Z6kernelI9broadcastfLj63ELj63ELj100EEvPKT0_PS1_S1_,@function
_Z6kernelI9broadcastfLj63ELj63ELj100EEvPKT0_PS1_S1_: ; @_Z6kernelI9broadcastfLj63ELj63ELj100EEvPKT0_PS1_S1_
; %bb.0:
	s_load_dword s7, s[4:5], 0x24
	s_load_dwordx4 s[0:3], s[4:5], 0x0
	v_mov_b32_e32 v1, 0
	s_waitcnt lgkmcnt(0)
	s_and_b32 s4, s7, 0xffff
	s_mul_i32 s6, s6, s4
	v_add_u32_e32 v0, s6, v0
	v_lshlrev_b64 v[2:3], 2, v[0:1]
	v_mov_b32_e32 v0, s1
	v_add_co_u32_e32 v4, vcc, s0, v2
	v_addc_co_u32_e32 v5, vcc, v0, v3, vcc
	global_load_dword v0, v[4:5], off
	v_mbcnt_lo_u32_b32 v4, -1, 0
	v_mbcnt_hi_u32_b32 v4, -1, v4
	s_mov_b32 s0, 0xbefbefbf
	v_mul_lo_u32 v4, v4, s0
	s_mov_b32 s0, 0x4104105
	s_movk_i32 s4, 0x64
	v_cmp_gt_u32_e32 vcc, s0, v4
	s_branch .LBB108_2
.LBB108_1:                              ;   in Loop: Header=BB108_2 Depth=1
	s_or_b64 exec, exec, s[0:1]
	; wave barrier
	s_waitcnt vmcnt(0) lgkmcnt(0)
	ds_read_b32 v0, v1
	s_add_i32 s4, s4, -1
	s_cmp_lg_u32 s4, 0
	s_cbranch_scc0 .LBB108_4
.LBB108_2:                              ; =>This Inner Loop Header: Depth=1
	s_and_saveexec_b64 s[0:1], vcc
	s_cbranch_execz .LBB108_1
; %bb.3:                                ;   in Loop: Header=BB108_2 Depth=1
	s_waitcnt vmcnt(0) lgkmcnt(0)
	ds_write_b32 v1, v0
	s_branch .LBB108_1
.LBB108_4:
	v_mov_b32_e32 v4, s3
	v_add_co_u32_e32 v1, vcc, s2, v2
	v_addc_co_u32_e32 v2, vcc, v4, v3, vcc
	s_waitcnt lgkmcnt(0)
	global_store_dword v[1:2], v0, off
	s_endpgm
	.section	.rodata,"a",@progbits
	.p2align	6, 0x0
	.amdhsa_kernel _Z6kernelI9broadcastfLj63ELj63ELj100EEvPKT0_PS1_S1_
		.amdhsa_group_segment_fixed_size 252
		.amdhsa_private_segment_fixed_size 0
		.amdhsa_kernarg_size 280
		.amdhsa_user_sgpr_count 6
		.amdhsa_user_sgpr_private_segment_buffer 1
		.amdhsa_user_sgpr_dispatch_ptr 0
		.amdhsa_user_sgpr_queue_ptr 0
		.amdhsa_user_sgpr_kernarg_segment_ptr 1
		.amdhsa_user_sgpr_dispatch_id 0
		.amdhsa_user_sgpr_flat_scratch_init 0
		.amdhsa_user_sgpr_private_segment_size 0
		.amdhsa_uses_dynamic_stack 0
		.amdhsa_system_sgpr_private_segment_wavefront_offset 0
		.amdhsa_system_sgpr_workgroup_id_x 1
		.amdhsa_system_sgpr_workgroup_id_y 0
		.amdhsa_system_sgpr_workgroup_id_z 0
		.amdhsa_system_sgpr_workgroup_info 0
		.amdhsa_system_vgpr_workitem_id 0
		.amdhsa_next_free_vgpr 6
		.amdhsa_next_free_sgpr 8
		.amdhsa_reserve_vcc 1
		.amdhsa_reserve_flat_scratch 0
		.amdhsa_float_round_mode_32 0
		.amdhsa_float_round_mode_16_64 0
		.amdhsa_float_denorm_mode_32 3
		.amdhsa_float_denorm_mode_16_64 3
		.amdhsa_dx10_clamp 1
		.amdhsa_ieee_mode 1
		.amdhsa_fp16_overflow 0
		.amdhsa_exception_fp_ieee_invalid_op 0
		.amdhsa_exception_fp_denorm_src 0
		.amdhsa_exception_fp_ieee_div_zero 0
		.amdhsa_exception_fp_ieee_overflow 0
		.amdhsa_exception_fp_ieee_underflow 0
		.amdhsa_exception_fp_ieee_inexact 0
		.amdhsa_exception_int_div_zero 0
	.end_amdhsa_kernel
	.section	.text._Z6kernelI9broadcastfLj63ELj63ELj100EEvPKT0_PS1_S1_,"axG",@progbits,_Z6kernelI9broadcastfLj63ELj63ELj100EEvPKT0_PS1_S1_,comdat
.Lfunc_end108:
	.size	_Z6kernelI9broadcastfLj63ELj63ELj100EEvPKT0_PS1_S1_, .Lfunc_end108-_Z6kernelI9broadcastfLj63ELj63ELj100EEvPKT0_PS1_S1_
                                        ; -- End function
	.set _Z6kernelI9broadcastfLj63ELj63ELj100EEvPKT0_PS1_S1_.num_vgpr, 6
	.set _Z6kernelI9broadcastfLj63ELj63ELj100EEvPKT0_PS1_S1_.num_agpr, 0
	.set _Z6kernelI9broadcastfLj63ELj63ELj100EEvPKT0_PS1_S1_.numbered_sgpr, 8
	.set _Z6kernelI9broadcastfLj63ELj63ELj100EEvPKT0_PS1_S1_.num_named_barrier, 0
	.set _Z6kernelI9broadcastfLj63ELj63ELj100EEvPKT0_PS1_S1_.private_seg_size, 0
	.set _Z6kernelI9broadcastfLj63ELj63ELj100EEvPKT0_PS1_S1_.uses_vcc, 1
	.set _Z6kernelI9broadcastfLj63ELj63ELj100EEvPKT0_PS1_S1_.uses_flat_scratch, 0
	.set _Z6kernelI9broadcastfLj63ELj63ELj100EEvPKT0_PS1_S1_.has_dyn_sized_stack, 0
	.set _Z6kernelI9broadcastfLj63ELj63ELj100EEvPKT0_PS1_S1_.has_recursion, 0
	.set _Z6kernelI9broadcastfLj63ELj63ELj100EEvPKT0_PS1_S1_.has_indirect_call, 0
	.section	.AMDGPU.csdata,"",@progbits
; Kernel info:
; codeLenInByte = 200
; TotalNumSgprs: 12
; NumVgprs: 6
; ScratchSize: 0
; MemoryBound: 0
; FloatMode: 240
; IeeeMode: 1
; LDSByteSize: 252 bytes/workgroup (compile time only)
; SGPRBlocks: 1
; VGPRBlocks: 1
; NumSGPRsForWavesPerEU: 12
; NumVGPRsForWavesPerEU: 6
; Occupancy: 10
; WaveLimiterHint : 0
; COMPUTE_PGM_RSRC2:SCRATCH_EN: 0
; COMPUTE_PGM_RSRC2:USER_SGPR: 6
; COMPUTE_PGM_RSRC2:TRAP_HANDLER: 0
; COMPUTE_PGM_RSRC2:TGID_X_EN: 1
; COMPUTE_PGM_RSRC2:TGID_Y_EN: 0
; COMPUTE_PGM_RSRC2:TGID_Z_EN: 0
; COMPUTE_PGM_RSRC2:TIDIG_COMP_CNT: 0
	.section	.text._Z6kernelI9broadcastfLj64ELj64ELj100EEvPKT0_PS1_S1_,"axG",@progbits,_Z6kernelI9broadcastfLj64ELj64ELj100EEvPKT0_PS1_S1_,comdat
	.protected	_Z6kernelI9broadcastfLj64ELj64ELj100EEvPKT0_PS1_S1_ ; -- Begin function _Z6kernelI9broadcastfLj64ELj64ELj100EEvPKT0_PS1_S1_
	.globl	_Z6kernelI9broadcastfLj64ELj64ELj100EEvPKT0_PS1_S1_
	.p2align	8
	.type	_Z6kernelI9broadcastfLj64ELj64ELj100EEvPKT0_PS1_S1_,@function
_Z6kernelI9broadcastfLj64ELj64ELj100EEvPKT0_PS1_S1_: ; @_Z6kernelI9broadcastfLj64ELj64ELj100EEvPKT0_PS1_S1_
; %bb.0:
	s_load_dword s7, s[4:5], 0x24
	s_load_dwordx4 s[0:3], s[4:5], 0x0
	v_mov_b32_e32 v1, 0
	s_waitcnt lgkmcnt(0)
	s_and_b32 s4, s7, 0xffff
	s_mul_i32 s6, s6, s4
	v_add_u32_e32 v0, s6, v0
	v_lshlrev_b64 v[0:1], 2, v[0:1]
	v_mov_b32_e32 v3, s1
	v_add_co_u32_e32 v2, vcc, s0, v0
	v_addc_co_u32_e32 v3, vcc, v3, v1, vcc
	global_load_dword v2, v[2:3], off
	v_mbcnt_lo_u32_b32 v3, -1, 0
	v_mbcnt_hi_u32_b32 v3, -1, v3
	v_lshlrev_b32_e32 v3, 2, v3
	v_and_b32_e32 v3, 0x100, v3
	s_movk_i32 s0, 0x64
.LBB109_1:                              ; =>This Inner Loop Header: Depth=1
	s_waitcnt vmcnt(0) lgkmcnt(0)
	ds_bpermute_b32 v2, v3, v2
	s_add_i32 s0, s0, -1
	s_cmp_lg_u32 s0, 0
	s_cbranch_scc1 .LBB109_1
; %bb.2:
	v_mov_b32_e32 v3, s3
	v_add_co_u32_e32 v0, vcc, s2, v0
	v_addc_co_u32_e32 v1, vcc, v3, v1, vcc
	s_waitcnt lgkmcnt(0)
	global_store_dword v[0:1], v2, off
	s_endpgm
	.section	.rodata,"a",@progbits
	.p2align	6, 0x0
	.amdhsa_kernel _Z6kernelI9broadcastfLj64ELj64ELj100EEvPKT0_PS1_S1_
		.amdhsa_group_segment_fixed_size 0
		.amdhsa_private_segment_fixed_size 0
		.amdhsa_kernarg_size 280
		.amdhsa_user_sgpr_count 6
		.amdhsa_user_sgpr_private_segment_buffer 1
		.amdhsa_user_sgpr_dispatch_ptr 0
		.amdhsa_user_sgpr_queue_ptr 0
		.amdhsa_user_sgpr_kernarg_segment_ptr 1
		.amdhsa_user_sgpr_dispatch_id 0
		.amdhsa_user_sgpr_flat_scratch_init 0
		.amdhsa_user_sgpr_private_segment_size 0
		.amdhsa_uses_dynamic_stack 0
		.amdhsa_system_sgpr_private_segment_wavefront_offset 0
		.amdhsa_system_sgpr_workgroup_id_x 1
		.amdhsa_system_sgpr_workgroup_id_y 0
		.amdhsa_system_sgpr_workgroup_id_z 0
		.amdhsa_system_sgpr_workgroup_info 0
		.amdhsa_system_vgpr_workitem_id 0
		.amdhsa_next_free_vgpr 4
		.amdhsa_next_free_sgpr 8
		.amdhsa_reserve_vcc 1
		.amdhsa_reserve_flat_scratch 0
		.amdhsa_float_round_mode_32 0
		.amdhsa_float_round_mode_16_64 0
		.amdhsa_float_denorm_mode_32 3
		.amdhsa_float_denorm_mode_16_64 3
		.amdhsa_dx10_clamp 1
		.amdhsa_ieee_mode 1
		.amdhsa_fp16_overflow 0
		.amdhsa_exception_fp_ieee_invalid_op 0
		.amdhsa_exception_fp_denorm_src 0
		.amdhsa_exception_fp_ieee_div_zero 0
		.amdhsa_exception_fp_ieee_overflow 0
		.amdhsa_exception_fp_ieee_underflow 0
		.amdhsa_exception_fp_ieee_inexact 0
		.amdhsa_exception_int_div_zero 0
	.end_amdhsa_kernel
	.section	.text._Z6kernelI9broadcastfLj64ELj64ELj100EEvPKT0_PS1_S1_,"axG",@progbits,_Z6kernelI9broadcastfLj64ELj64ELj100EEvPKT0_PS1_S1_,comdat
.Lfunc_end109:
	.size	_Z6kernelI9broadcastfLj64ELj64ELj100EEvPKT0_PS1_S1_, .Lfunc_end109-_Z6kernelI9broadcastfLj64ELj64ELj100EEvPKT0_PS1_S1_
                                        ; -- End function
	.set _Z6kernelI9broadcastfLj64ELj64ELj100EEvPKT0_PS1_S1_.num_vgpr, 4
	.set _Z6kernelI9broadcastfLj64ELj64ELj100EEvPKT0_PS1_S1_.num_agpr, 0
	.set _Z6kernelI9broadcastfLj64ELj64ELj100EEvPKT0_PS1_S1_.numbered_sgpr, 8
	.set _Z6kernelI9broadcastfLj64ELj64ELj100EEvPKT0_PS1_S1_.num_named_barrier, 0
	.set _Z6kernelI9broadcastfLj64ELj64ELj100EEvPKT0_PS1_S1_.private_seg_size, 0
	.set _Z6kernelI9broadcastfLj64ELj64ELj100EEvPKT0_PS1_S1_.uses_vcc, 1
	.set _Z6kernelI9broadcastfLj64ELj64ELj100EEvPKT0_PS1_S1_.uses_flat_scratch, 0
	.set _Z6kernelI9broadcastfLj64ELj64ELj100EEvPKT0_PS1_S1_.has_dyn_sized_stack, 0
	.set _Z6kernelI9broadcastfLj64ELj64ELj100EEvPKT0_PS1_S1_.has_recursion, 0
	.set _Z6kernelI9broadcastfLj64ELj64ELj100EEvPKT0_PS1_S1_.has_indirect_call, 0
	.section	.AMDGPU.csdata,"",@progbits
; Kernel info:
; codeLenInByte = 152
; TotalNumSgprs: 12
; NumVgprs: 4
; ScratchSize: 0
; MemoryBound: 0
; FloatMode: 240
; IeeeMode: 1
; LDSByteSize: 0 bytes/workgroup (compile time only)
; SGPRBlocks: 1
; VGPRBlocks: 0
; NumSGPRsForWavesPerEU: 12
; NumVGPRsForWavesPerEU: 4
; Occupancy: 10
; WaveLimiterHint : 0
; COMPUTE_PGM_RSRC2:SCRATCH_EN: 0
; COMPUTE_PGM_RSRC2:USER_SGPR: 6
; COMPUTE_PGM_RSRC2:TRAP_HANDLER: 0
; COMPUTE_PGM_RSRC2:TGID_X_EN: 1
; COMPUTE_PGM_RSRC2:TGID_Y_EN: 0
; COMPUTE_PGM_RSRC2:TGID_Z_EN: 0
; COMPUTE_PGM_RSRC2:TIDIG_COMP_CNT: 0
	.section	.text._Z6kernelI9broadcastfLj128ELj64ELj100EEvPKT0_PS1_S1_,"axG",@progbits,_Z6kernelI9broadcastfLj128ELj64ELj100EEvPKT0_PS1_S1_,comdat
	.protected	_Z6kernelI9broadcastfLj128ELj64ELj100EEvPKT0_PS1_S1_ ; -- Begin function _Z6kernelI9broadcastfLj128ELj64ELj100EEvPKT0_PS1_S1_
	.globl	_Z6kernelI9broadcastfLj128ELj64ELj100EEvPKT0_PS1_S1_
	.p2align	8
	.type	_Z6kernelI9broadcastfLj128ELj64ELj100EEvPKT0_PS1_S1_,@function
_Z6kernelI9broadcastfLj128ELj64ELj100EEvPKT0_PS1_S1_: ; @_Z6kernelI9broadcastfLj128ELj64ELj100EEvPKT0_PS1_S1_
; %bb.0:
	s_load_dword s7, s[4:5], 0x24
	s_load_dwordx4 s[0:3], s[4:5], 0x0
	v_mov_b32_e32 v1, 0
	s_waitcnt lgkmcnt(0)
	s_and_b32 s4, s7, 0xffff
	s_mul_i32 s6, s6, s4
	v_add_u32_e32 v0, s6, v0
	v_lshlrev_b64 v[0:1], 2, v[0:1]
	v_mov_b32_e32 v3, s1
	v_add_co_u32_e32 v2, vcc, s0, v0
	v_addc_co_u32_e32 v3, vcc, v3, v1, vcc
	global_load_dword v2, v[2:3], off
	v_mbcnt_lo_u32_b32 v3, -1, 0
	v_mbcnt_hi_u32_b32 v3, -1, v3
	v_lshlrev_b32_e32 v3, 2, v3
	v_and_b32_e32 v3, 0x100, v3
	s_movk_i32 s0, 0x64
.LBB110_1:                              ; =>This Inner Loop Header: Depth=1
	s_waitcnt vmcnt(0) lgkmcnt(0)
	ds_bpermute_b32 v2, v3, v2
	s_add_i32 s0, s0, -1
	s_cmp_lg_u32 s0, 0
	s_cbranch_scc1 .LBB110_1
; %bb.2:
	v_mov_b32_e32 v3, s3
	v_add_co_u32_e32 v0, vcc, s2, v0
	v_addc_co_u32_e32 v1, vcc, v3, v1, vcc
	s_waitcnt lgkmcnt(0)
	global_store_dword v[0:1], v2, off
	s_endpgm
	.section	.rodata,"a",@progbits
	.p2align	6, 0x0
	.amdhsa_kernel _Z6kernelI9broadcastfLj128ELj64ELj100EEvPKT0_PS1_S1_
		.amdhsa_group_segment_fixed_size 0
		.amdhsa_private_segment_fixed_size 0
		.amdhsa_kernarg_size 280
		.amdhsa_user_sgpr_count 6
		.amdhsa_user_sgpr_private_segment_buffer 1
		.amdhsa_user_sgpr_dispatch_ptr 0
		.amdhsa_user_sgpr_queue_ptr 0
		.amdhsa_user_sgpr_kernarg_segment_ptr 1
		.amdhsa_user_sgpr_dispatch_id 0
		.amdhsa_user_sgpr_flat_scratch_init 0
		.amdhsa_user_sgpr_private_segment_size 0
		.amdhsa_uses_dynamic_stack 0
		.amdhsa_system_sgpr_private_segment_wavefront_offset 0
		.amdhsa_system_sgpr_workgroup_id_x 1
		.amdhsa_system_sgpr_workgroup_id_y 0
		.amdhsa_system_sgpr_workgroup_id_z 0
		.amdhsa_system_sgpr_workgroup_info 0
		.amdhsa_system_vgpr_workitem_id 0
		.amdhsa_next_free_vgpr 4
		.amdhsa_next_free_sgpr 8
		.amdhsa_reserve_vcc 1
		.amdhsa_reserve_flat_scratch 0
		.amdhsa_float_round_mode_32 0
		.amdhsa_float_round_mode_16_64 0
		.amdhsa_float_denorm_mode_32 3
		.amdhsa_float_denorm_mode_16_64 3
		.amdhsa_dx10_clamp 1
		.amdhsa_ieee_mode 1
		.amdhsa_fp16_overflow 0
		.amdhsa_exception_fp_ieee_invalid_op 0
		.amdhsa_exception_fp_denorm_src 0
		.amdhsa_exception_fp_ieee_div_zero 0
		.amdhsa_exception_fp_ieee_overflow 0
		.amdhsa_exception_fp_ieee_underflow 0
		.amdhsa_exception_fp_ieee_inexact 0
		.amdhsa_exception_int_div_zero 0
	.end_amdhsa_kernel
	.section	.text._Z6kernelI9broadcastfLj128ELj64ELj100EEvPKT0_PS1_S1_,"axG",@progbits,_Z6kernelI9broadcastfLj128ELj64ELj100EEvPKT0_PS1_S1_,comdat
.Lfunc_end110:
	.size	_Z6kernelI9broadcastfLj128ELj64ELj100EEvPKT0_PS1_S1_, .Lfunc_end110-_Z6kernelI9broadcastfLj128ELj64ELj100EEvPKT0_PS1_S1_
                                        ; -- End function
	.set _Z6kernelI9broadcastfLj128ELj64ELj100EEvPKT0_PS1_S1_.num_vgpr, 4
	.set _Z6kernelI9broadcastfLj128ELj64ELj100EEvPKT0_PS1_S1_.num_agpr, 0
	.set _Z6kernelI9broadcastfLj128ELj64ELj100EEvPKT0_PS1_S1_.numbered_sgpr, 8
	.set _Z6kernelI9broadcastfLj128ELj64ELj100EEvPKT0_PS1_S1_.num_named_barrier, 0
	.set _Z6kernelI9broadcastfLj128ELj64ELj100EEvPKT0_PS1_S1_.private_seg_size, 0
	.set _Z6kernelI9broadcastfLj128ELj64ELj100EEvPKT0_PS1_S1_.uses_vcc, 1
	.set _Z6kernelI9broadcastfLj128ELj64ELj100EEvPKT0_PS1_S1_.uses_flat_scratch, 0
	.set _Z6kernelI9broadcastfLj128ELj64ELj100EEvPKT0_PS1_S1_.has_dyn_sized_stack, 0
	.set _Z6kernelI9broadcastfLj128ELj64ELj100EEvPKT0_PS1_S1_.has_recursion, 0
	.set _Z6kernelI9broadcastfLj128ELj64ELj100EEvPKT0_PS1_S1_.has_indirect_call, 0
	.section	.AMDGPU.csdata,"",@progbits
; Kernel info:
; codeLenInByte = 152
; TotalNumSgprs: 12
; NumVgprs: 4
; ScratchSize: 0
; MemoryBound: 0
; FloatMode: 240
; IeeeMode: 1
; LDSByteSize: 0 bytes/workgroup (compile time only)
; SGPRBlocks: 1
; VGPRBlocks: 0
; NumSGPRsForWavesPerEU: 12
; NumVGPRsForWavesPerEU: 4
; Occupancy: 10
; WaveLimiterHint : 0
; COMPUTE_PGM_RSRC2:SCRATCH_EN: 0
; COMPUTE_PGM_RSRC2:USER_SGPR: 6
; COMPUTE_PGM_RSRC2:TRAP_HANDLER: 0
; COMPUTE_PGM_RSRC2:TGID_X_EN: 1
; COMPUTE_PGM_RSRC2:TGID_Y_EN: 0
; COMPUTE_PGM_RSRC2:TGID_Z_EN: 0
; COMPUTE_PGM_RSRC2:TIDIG_COMP_CNT: 0
	.section	.text._Z6kernelI9broadcastfLj256ELj64ELj100EEvPKT0_PS1_S1_,"axG",@progbits,_Z6kernelI9broadcastfLj256ELj64ELj100EEvPKT0_PS1_S1_,comdat
	.protected	_Z6kernelI9broadcastfLj256ELj64ELj100EEvPKT0_PS1_S1_ ; -- Begin function _Z6kernelI9broadcastfLj256ELj64ELj100EEvPKT0_PS1_S1_
	.globl	_Z6kernelI9broadcastfLj256ELj64ELj100EEvPKT0_PS1_S1_
	.p2align	8
	.type	_Z6kernelI9broadcastfLj256ELj64ELj100EEvPKT0_PS1_S1_,@function
_Z6kernelI9broadcastfLj256ELj64ELj100EEvPKT0_PS1_S1_: ; @_Z6kernelI9broadcastfLj256ELj64ELj100EEvPKT0_PS1_S1_
; %bb.0:
	s_load_dword s7, s[4:5], 0x24
	s_load_dwordx4 s[0:3], s[4:5], 0x0
	v_mov_b32_e32 v1, 0
	s_waitcnt lgkmcnt(0)
	s_and_b32 s4, s7, 0xffff
	s_mul_i32 s6, s6, s4
	v_add_u32_e32 v0, s6, v0
	v_lshlrev_b64 v[0:1], 2, v[0:1]
	v_mov_b32_e32 v3, s1
	v_add_co_u32_e32 v2, vcc, s0, v0
	v_addc_co_u32_e32 v3, vcc, v3, v1, vcc
	global_load_dword v2, v[2:3], off
	v_mbcnt_lo_u32_b32 v3, -1, 0
	v_mbcnt_hi_u32_b32 v3, -1, v3
	v_lshlrev_b32_e32 v3, 2, v3
	v_and_b32_e32 v3, 0x100, v3
	s_movk_i32 s0, 0x64
.LBB111_1:                              ; =>This Inner Loop Header: Depth=1
	s_waitcnt vmcnt(0) lgkmcnt(0)
	ds_bpermute_b32 v2, v3, v2
	s_add_i32 s0, s0, -1
	s_cmp_lg_u32 s0, 0
	s_cbranch_scc1 .LBB111_1
; %bb.2:
	v_mov_b32_e32 v3, s3
	v_add_co_u32_e32 v0, vcc, s2, v0
	v_addc_co_u32_e32 v1, vcc, v3, v1, vcc
	s_waitcnt lgkmcnt(0)
	global_store_dword v[0:1], v2, off
	s_endpgm
	.section	.rodata,"a",@progbits
	.p2align	6, 0x0
	.amdhsa_kernel _Z6kernelI9broadcastfLj256ELj64ELj100EEvPKT0_PS1_S1_
		.amdhsa_group_segment_fixed_size 0
		.amdhsa_private_segment_fixed_size 0
		.amdhsa_kernarg_size 280
		.amdhsa_user_sgpr_count 6
		.amdhsa_user_sgpr_private_segment_buffer 1
		.amdhsa_user_sgpr_dispatch_ptr 0
		.amdhsa_user_sgpr_queue_ptr 0
		.amdhsa_user_sgpr_kernarg_segment_ptr 1
		.amdhsa_user_sgpr_dispatch_id 0
		.amdhsa_user_sgpr_flat_scratch_init 0
		.amdhsa_user_sgpr_private_segment_size 0
		.amdhsa_uses_dynamic_stack 0
		.amdhsa_system_sgpr_private_segment_wavefront_offset 0
		.amdhsa_system_sgpr_workgroup_id_x 1
		.amdhsa_system_sgpr_workgroup_id_y 0
		.amdhsa_system_sgpr_workgroup_id_z 0
		.amdhsa_system_sgpr_workgroup_info 0
		.amdhsa_system_vgpr_workitem_id 0
		.amdhsa_next_free_vgpr 4
		.amdhsa_next_free_sgpr 8
		.amdhsa_reserve_vcc 1
		.amdhsa_reserve_flat_scratch 0
		.amdhsa_float_round_mode_32 0
		.amdhsa_float_round_mode_16_64 0
		.amdhsa_float_denorm_mode_32 3
		.amdhsa_float_denorm_mode_16_64 3
		.amdhsa_dx10_clamp 1
		.amdhsa_ieee_mode 1
		.amdhsa_fp16_overflow 0
		.amdhsa_exception_fp_ieee_invalid_op 0
		.amdhsa_exception_fp_denorm_src 0
		.amdhsa_exception_fp_ieee_div_zero 0
		.amdhsa_exception_fp_ieee_overflow 0
		.amdhsa_exception_fp_ieee_underflow 0
		.amdhsa_exception_fp_ieee_inexact 0
		.amdhsa_exception_int_div_zero 0
	.end_amdhsa_kernel
	.section	.text._Z6kernelI9broadcastfLj256ELj64ELj100EEvPKT0_PS1_S1_,"axG",@progbits,_Z6kernelI9broadcastfLj256ELj64ELj100EEvPKT0_PS1_S1_,comdat
.Lfunc_end111:
	.size	_Z6kernelI9broadcastfLj256ELj64ELj100EEvPKT0_PS1_S1_, .Lfunc_end111-_Z6kernelI9broadcastfLj256ELj64ELj100EEvPKT0_PS1_S1_
                                        ; -- End function
	.set _Z6kernelI9broadcastfLj256ELj64ELj100EEvPKT0_PS1_S1_.num_vgpr, 4
	.set _Z6kernelI9broadcastfLj256ELj64ELj100EEvPKT0_PS1_S1_.num_agpr, 0
	.set _Z6kernelI9broadcastfLj256ELj64ELj100EEvPKT0_PS1_S1_.numbered_sgpr, 8
	.set _Z6kernelI9broadcastfLj256ELj64ELj100EEvPKT0_PS1_S1_.num_named_barrier, 0
	.set _Z6kernelI9broadcastfLj256ELj64ELj100EEvPKT0_PS1_S1_.private_seg_size, 0
	.set _Z6kernelI9broadcastfLj256ELj64ELj100EEvPKT0_PS1_S1_.uses_vcc, 1
	.set _Z6kernelI9broadcastfLj256ELj64ELj100EEvPKT0_PS1_S1_.uses_flat_scratch, 0
	.set _Z6kernelI9broadcastfLj256ELj64ELj100EEvPKT0_PS1_S1_.has_dyn_sized_stack, 0
	.set _Z6kernelI9broadcastfLj256ELj64ELj100EEvPKT0_PS1_S1_.has_recursion, 0
	.set _Z6kernelI9broadcastfLj256ELj64ELj100EEvPKT0_PS1_S1_.has_indirect_call, 0
	.section	.AMDGPU.csdata,"",@progbits
; Kernel info:
; codeLenInByte = 152
; TotalNumSgprs: 12
; NumVgprs: 4
; ScratchSize: 0
; MemoryBound: 0
; FloatMode: 240
; IeeeMode: 1
; LDSByteSize: 0 bytes/workgroup (compile time only)
; SGPRBlocks: 1
; VGPRBlocks: 0
; NumSGPRsForWavesPerEU: 12
; NumVGPRsForWavesPerEU: 4
; Occupancy: 10
; WaveLimiterHint : 0
; COMPUTE_PGM_RSRC2:SCRATCH_EN: 0
; COMPUTE_PGM_RSRC2:USER_SGPR: 6
; COMPUTE_PGM_RSRC2:TRAP_HANDLER: 0
; COMPUTE_PGM_RSRC2:TGID_X_EN: 1
; COMPUTE_PGM_RSRC2:TGID_Y_EN: 0
; COMPUTE_PGM_RSRC2:TGID_Z_EN: 0
; COMPUTE_PGM_RSRC2:TIDIG_COMP_CNT: 0
	.section	.text._Z6kernelI9broadcastdLj60ELj15ELj100EEvPKT0_PS1_S1_,"axG",@progbits,_Z6kernelI9broadcastdLj60ELj15ELj100EEvPKT0_PS1_S1_,comdat
	.protected	_Z6kernelI9broadcastdLj60ELj15ELj100EEvPKT0_PS1_S1_ ; -- Begin function _Z6kernelI9broadcastdLj60ELj15ELj100EEvPKT0_PS1_S1_
	.globl	_Z6kernelI9broadcastdLj60ELj15ELj100EEvPKT0_PS1_S1_
	.p2align	8
	.type	_Z6kernelI9broadcastdLj60ELj15ELj100EEvPKT0_PS1_S1_,@function
_Z6kernelI9broadcastdLj60ELj15ELj100EEvPKT0_PS1_S1_: ; @_Z6kernelI9broadcastdLj60ELj15ELj100EEvPKT0_PS1_S1_
; %bb.0:
	s_load_dword s7, s[4:5], 0x24
	s_load_dwordx4 s[0:3], s[4:5], 0x0
	v_mov_b32_e32 v1, 0
	s_waitcnt lgkmcnt(0)
	s_and_b32 s4, s7, 0xffff
	s_mul_i32 s6, s6, s4
	v_add_u32_e32 v0, s6, v0
	v_lshlrev_b64 v[2:3], 3, v[0:1]
	v_mov_b32_e32 v0, s1
	v_add_co_u32_e32 v4, vcc, s0, v2
	v_addc_co_u32_e32 v5, vcc, v0, v3, vcc
	global_load_dwordx2 v[4:5], v[4:5], off
	v_mbcnt_lo_u32_b32 v0, -1, 0
	v_mbcnt_hi_u32_b32 v0, -1, v0
	s_mov_b32 s0, 0xeeeeeeef
	v_mul_lo_u32 v0, v0, s0
	s_mov_b32 s0, 0x11111112
	s_movk_i32 s4, 0x64
	v_cmp_gt_u32_e32 vcc, s0, v0
	s_branch .LBB112_2
.LBB112_1:                              ;   in Loop: Header=BB112_2 Depth=1
	s_or_b64 exec, exec, s[0:1]
	; wave barrier
	s_waitcnt vmcnt(0) lgkmcnt(0)
	ds_read_b64 v[4:5], v1
	s_add_i32 s4, s4, -1
	s_cmp_lg_u32 s4, 0
	s_cbranch_scc0 .LBB112_4
.LBB112_2:                              ; =>This Inner Loop Header: Depth=1
	s_and_saveexec_b64 s[0:1], vcc
	s_cbranch_execz .LBB112_1
; %bb.3:                                ;   in Loop: Header=BB112_2 Depth=1
	s_waitcnt vmcnt(0) lgkmcnt(0)
	ds_write_b64 v1, v[4:5]
	s_branch .LBB112_1
.LBB112_4:
	v_mov_b32_e32 v1, s3
	v_add_co_u32_e32 v0, vcc, s2, v2
	v_addc_co_u32_e32 v1, vcc, v1, v3, vcc
	s_waitcnt lgkmcnt(0)
	global_store_dwordx2 v[0:1], v[4:5], off
	s_endpgm
	.section	.rodata,"a",@progbits
	.p2align	6, 0x0
	.amdhsa_kernel _Z6kernelI9broadcastdLj60ELj15ELj100EEvPKT0_PS1_S1_
		.amdhsa_group_segment_fixed_size 120
		.amdhsa_private_segment_fixed_size 0
		.amdhsa_kernarg_size 280
		.amdhsa_user_sgpr_count 6
		.amdhsa_user_sgpr_private_segment_buffer 1
		.amdhsa_user_sgpr_dispatch_ptr 0
		.amdhsa_user_sgpr_queue_ptr 0
		.amdhsa_user_sgpr_kernarg_segment_ptr 1
		.amdhsa_user_sgpr_dispatch_id 0
		.amdhsa_user_sgpr_flat_scratch_init 0
		.amdhsa_user_sgpr_private_segment_size 0
		.amdhsa_uses_dynamic_stack 0
		.amdhsa_system_sgpr_private_segment_wavefront_offset 0
		.amdhsa_system_sgpr_workgroup_id_x 1
		.amdhsa_system_sgpr_workgroup_id_y 0
		.amdhsa_system_sgpr_workgroup_id_z 0
		.amdhsa_system_sgpr_workgroup_info 0
		.amdhsa_system_vgpr_workitem_id 0
		.amdhsa_next_free_vgpr 6
		.amdhsa_next_free_sgpr 8
		.amdhsa_reserve_vcc 1
		.amdhsa_reserve_flat_scratch 0
		.amdhsa_float_round_mode_32 0
		.amdhsa_float_round_mode_16_64 0
		.amdhsa_float_denorm_mode_32 3
		.amdhsa_float_denorm_mode_16_64 3
		.amdhsa_dx10_clamp 1
		.amdhsa_ieee_mode 1
		.amdhsa_fp16_overflow 0
		.amdhsa_exception_fp_ieee_invalid_op 0
		.amdhsa_exception_fp_denorm_src 0
		.amdhsa_exception_fp_ieee_div_zero 0
		.amdhsa_exception_fp_ieee_overflow 0
		.amdhsa_exception_fp_ieee_underflow 0
		.amdhsa_exception_fp_ieee_inexact 0
		.amdhsa_exception_int_div_zero 0
	.end_amdhsa_kernel
	.section	.text._Z6kernelI9broadcastdLj60ELj15ELj100EEvPKT0_PS1_S1_,"axG",@progbits,_Z6kernelI9broadcastdLj60ELj15ELj100EEvPKT0_PS1_S1_,comdat
.Lfunc_end112:
	.size	_Z6kernelI9broadcastdLj60ELj15ELj100EEvPKT0_PS1_S1_, .Lfunc_end112-_Z6kernelI9broadcastdLj60ELj15ELj100EEvPKT0_PS1_S1_
                                        ; -- End function
	.set _Z6kernelI9broadcastdLj60ELj15ELj100EEvPKT0_PS1_S1_.num_vgpr, 6
	.set _Z6kernelI9broadcastdLj60ELj15ELj100EEvPKT0_PS1_S1_.num_agpr, 0
	.set _Z6kernelI9broadcastdLj60ELj15ELj100EEvPKT0_PS1_S1_.numbered_sgpr, 8
	.set _Z6kernelI9broadcastdLj60ELj15ELj100EEvPKT0_PS1_S1_.num_named_barrier, 0
	.set _Z6kernelI9broadcastdLj60ELj15ELj100EEvPKT0_PS1_S1_.private_seg_size, 0
	.set _Z6kernelI9broadcastdLj60ELj15ELj100EEvPKT0_PS1_S1_.uses_vcc, 1
	.set _Z6kernelI9broadcastdLj60ELj15ELj100EEvPKT0_PS1_S1_.uses_flat_scratch, 0
	.set _Z6kernelI9broadcastdLj60ELj15ELj100EEvPKT0_PS1_S1_.has_dyn_sized_stack, 0
	.set _Z6kernelI9broadcastdLj60ELj15ELj100EEvPKT0_PS1_S1_.has_recursion, 0
	.set _Z6kernelI9broadcastdLj60ELj15ELj100EEvPKT0_PS1_S1_.has_indirect_call, 0
	.section	.AMDGPU.csdata,"",@progbits
; Kernel info:
; codeLenInByte = 200
; TotalNumSgprs: 12
; NumVgprs: 6
; ScratchSize: 0
; MemoryBound: 0
; FloatMode: 240
; IeeeMode: 1
; LDSByteSize: 120 bytes/workgroup (compile time only)
; SGPRBlocks: 1
; VGPRBlocks: 1
; NumSGPRsForWavesPerEU: 12
; NumVGPRsForWavesPerEU: 6
; Occupancy: 10
; WaveLimiterHint : 0
; COMPUTE_PGM_RSRC2:SCRATCH_EN: 0
; COMPUTE_PGM_RSRC2:USER_SGPR: 6
; COMPUTE_PGM_RSRC2:TRAP_HANDLER: 0
; COMPUTE_PGM_RSRC2:TGID_X_EN: 1
; COMPUTE_PGM_RSRC2:TGID_Y_EN: 0
; COMPUTE_PGM_RSRC2:TGID_Z_EN: 0
; COMPUTE_PGM_RSRC2:TIDIG_COMP_CNT: 0
	.section	.text._Z6kernelI9broadcastdLj256ELj16ELj100EEvPKT0_PS1_S1_,"axG",@progbits,_Z6kernelI9broadcastdLj256ELj16ELj100EEvPKT0_PS1_S1_,comdat
	.protected	_Z6kernelI9broadcastdLj256ELj16ELj100EEvPKT0_PS1_S1_ ; -- Begin function _Z6kernelI9broadcastdLj256ELj16ELj100EEvPKT0_PS1_S1_
	.globl	_Z6kernelI9broadcastdLj256ELj16ELj100EEvPKT0_PS1_S1_
	.p2align	8
	.type	_Z6kernelI9broadcastdLj256ELj16ELj100EEvPKT0_PS1_S1_,@function
_Z6kernelI9broadcastdLj256ELj16ELj100EEvPKT0_PS1_S1_: ; @_Z6kernelI9broadcastdLj256ELj16ELj100EEvPKT0_PS1_S1_
; %bb.0:
	s_load_dword s7, s[4:5], 0x24
	s_load_dwordx4 s[0:3], s[4:5], 0x0
	v_mov_b32_e32 v1, 0
	v_mbcnt_lo_u32_b32 v4, -1, 0
	v_mbcnt_hi_u32_b32 v4, -1, v4
	s_waitcnt lgkmcnt(0)
	s_and_b32 s4, s7, 0xffff
	s_mul_i32 s6, s6, s4
	v_add_u32_e32 v0, s6, v0
	v_lshlrev_b64 v[0:1], 3, v[0:1]
	v_mov_b32_e32 v3, s1
	v_add_co_u32_e32 v2, vcc, s0, v0
	v_addc_co_u32_e32 v3, vcc, v3, v1, vcc
	global_load_dwordx2 v[2:3], v[2:3], off
	v_lshlrev_b32_e32 v4, 2, v4
	v_and_b32_e32 v4, 0x1c0, v4
	s_movk_i32 s0, 0x64
.LBB113_1:                              ; =>This Inner Loop Header: Depth=1
	s_waitcnt vmcnt(0) lgkmcnt(1)
	ds_bpermute_b32 v2, v4, v2
	s_waitcnt lgkmcnt(1)
	ds_bpermute_b32 v3, v4, v3
	s_add_i32 s0, s0, -1
	s_cmp_lg_u32 s0, 0
	s_cbranch_scc1 .LBB113_1
; %bb.2:
	v_mov_b32_e32 v4, s3
	v_add_co_u32_e32 v0, vcc, s2, v0
	v_addc_co_u32_e32 v1, vcc, v4, v1, vcc
	s_waitcnt lgkmcnt(0)
	global_store_dwordx2 v[0:1], v[2:3], off
	s_endpgm
	.section	.rodata,"a",@progbits
	.p2align	6, 0x0
	.amdhsa_kernel _Z6kernelI9broadcastdLj256ELj16ELj100EEvPKT0_PS1_S1_
		.amdhsa_group_segment_fixed_size 0
		.amdhsa_private_segment_fixed_size 0
		.amdhsa_kernarg_size 280
		.amdhsa_user_sgpr_count 6
		.amdhsa_user_sgpr_private_segment_buffer 1
		.amdhsa_user_sgpr_dispatch_ptr 0
		.amdhsa_user_sgpr_queue_ptr 0
		.amdhsa_user_sgpr_kernarg_segment_ptr 1
		.amdhsa_user_sgpr_dispatch_id 0
		.amdhsa_user_sgpr_flat_scratch_init 0
		.amdhsa_user_sgpr_private_segment_size 0
		.amdhsa_uses_dynamic_stack 0
		.amdhsa_system_sgpr_private_segment_wavefront_offset 0
		.amdhsa_system_sgpr_workgroup_id_x 1
		.amdhsa_system_sgpr_workgroup_id_y 0
		.amdhsa_system_sgpr_workgroup_id_z 0
		.amdhsa_system_sgpr_workgroup_info 0
		.amdhsa_system_vgpr_workitem_id 0
		.amdhsa_next_free_vgpr 5
		.amdhsa_next_free_sgpr 8
		.amdhsa_reserve_vcc 1
		.amdhsa_reserve_flat_scratch 0
		.amdhsa_float_round_mode_32 0
		.amdhsa_float_round_mode_16_64 0
		.amdhsa_float_denorm_mode_32 3
		.amdhsa_float_denorm_mode_16_64 3
		.amdhsa_dx10_clamp 1
		.amdhsa_ieee_mode 1
		.amdhsa_fp16_overflow 0
		.amdhsa_exception_fp_ieee_invalid_op 0
		.amdhsa_exception_fp_denorm_src 0
		.amdhsa_exception_fp_ieee_div_zero 0
		.amdhsa_exception_fp_ieee_overflow 0
		.amdhsa_exception_fp_ieee_underflow 0
		.amdhsa_exception_fp_ieee_inexact 0
		.amdhsa_exception_int_div_zero 0
	.end_amdhsa_kernel
	.section	.text._Z6kernelI9broadcastdLj256ELj16ELj100EEvPKT0_PS1_S1_,"axG",@progbits,_Z6kernelI9broadcastdLj256ELj16ELj100EEvPKT0_PS1_S1_,comdat
.Lfunc_end113:
	.size	_Z6kernelI9broadcastdLj256ELj16ELj100EEvPKT0_PS1_S1_, .Lfunc_end113-_Z6kernelI9broadcastdLj256ELj16ELj100EEvPKT0_PS1_S1_
                                        ; -- End function
	.set _Z6kernelI9broadcastdLj256ELj16ELj100EEvPKT0_PS1_S1_.num_vgpr, 5
	.set _Z6kernelI9broadcastdLj256ELj16ELj100EEvPKT0_PS1_S1_.num_agpr, 0
	.set _Z6kernelI9broadcastdLj256ELj16ELj100EEvPKT0_PS1_S1_.numbered_sgpr, 8
	.set _Z6kernelI9broadcastdLj256ELj16ELj100EEvPKT0_PS1_S1_.num_named_barrier, 0
	.set _Z6kernelI9broadcastdLj256ELj16ELj100EEvPKT0_PS1_S1_.private_seg_size, 0
	.set _Z6kernelI9broadcastdLj256ELj16ELj100EEvPKT0_PS1_S1_.uses_vcc, 1
	.set _Z6kernelI9broadcastdLj256ELj16ELj100EEvPKT0_PS1_S1_.uses_flat_scratch, 0
	.set _Z6kernelI9broadcastdLj256ELj16ELj100EEvPKT0_PS1_S1_.has_dyn_sized_stack, 0
	.set _Z6kernelI9broadcastdLj256ELj16ELj100EEvPKT0_PS1_S1_.has_recursion, 0
	.set _Z6kernelI9broadcastdLj256ELj16ELj100EEvPKT0_PS1_S1_.has_indirect_call, 0
	.section	.AMDGPU.csdata,"",@progbits
; Kernel info:
; codeLenInByte = 164
; TotalNumSgprs: 12
; NumVgprs: 5
; ScratchSize: 0
; MemoryBound: 0
; FloatMode: 240
; IeeeMode: 1
; LDSByteSize: 0 bytes/workgroup (compile time only)
; SGPRBlocks: 1
; VGPRBlocks: 1
; NumSGPRsForWavesPerEU: 12
; NumVGPRsForWavesPerEU: 5
; Occupancy: 10
; WaveLimiterHint : 0
; COMPUTE_PGM_RSRC2:SCRATCH_EN: 0
; COMPUTE_PGM_RSRC2:USER_SGPR: 6
; COMPUTE_PGM_RSRC2:TRAP_HANDLER: 0
; COMPUTE_PGM_RSRC2:TGID_X_EN: 1
; COMPUTE_PGM_RSRC2:TGID_Y_EN: 0
; COMPUTE_PGM_RSRC2:TGID_Z_EN: 0
; COMPUTE_PGM_RSRC2:TIDIG_COMP_CNT: 0
	.section	.text._Z6kernelI9broadcastdLj62ELj31ELj100EEvPKT0_PS1_S1_,"axG",@progbits,_Z6kernelI9broadcastdLj62ELj31ELj100EEvPKT0_PS1_S1_,comdat
	.protected	_Z6kernelI9broadcastdLj62ELj31ELj100EEvPKT0_PS1_S1_ ; -- Begin function _Z6kernelI9broadcastdLj62ELj31ELj100EEvPKT0_PS1_S1_
	.globl	_Z6kernelI9broadcastdLj62ELj31ELj100EEvPKT0_PS1_S1_
	.p2align	8
	.type	_Z6kernelI9broadcastdLj62ELj31ELj100EEvPKT0_PS1_S1_,@function
_Z6kernelI9broadcastdLj62ELj31ELj100EEvPKT0_PS1_S1_: ; @_Z6kernelI9broadcastdLj62ELj31ELj100EEvPKT0_PS1_S1_
; %bb.0:
	s_load_dword s7, s[4:5], 0x24
	s_load_dwordx4 s[0:3], s[4:5], 0x0
	v_mov_b32_e32 v1, 0
	s_waitcnt lgkmcnt(0)
	s_and_b32 s4, s7, 0xffff
	s_mul_i32 s6, s6, s4
	v_add_u32_e32 v0, s6, v0
	v_lshlrev_b64 v[2:3], 3, v[0:1]
	v_mov_b32_e32 v0, s1
	v_add_co_u32_e32 v4, vcc, s0, v2
	v_addc_co_u32_e32 v5, vcc, v0, v3, vcc
	global_load_dwordx2 v[4:5], v[4:5], off
	v_mbcnt_lo_u32_b32 v0, -1, 0
	v_mbcnt_hi_u32_b32 v0, -1, v0
	s_mov_b32 s0, 0xbdef7bdf
	v_mul_lo_u32 v0, v0, s0
	s_mov_b32 s0, 0x8421085
	s_movk_i32 s4, 0x64
	v_cmp_gt_u32_e32 vcc, s0, v0
	s_branch .LBB114_2
.LBB114_1:                              ;   in Loop: Header=BB114_2 Depth=1
	s_or_b64 exec, exec, s[0:1]
	; wave barrier
	s_waitcnt vmcnt(0) lgkmcnt(0)
	ds_read_b64 v[4:5], v1
	s_add_i32 s4, s4, -1
	s_cmp_lg_u32 s4, 0
	s_cbranch_scc0 .LBB114_4
.LBB114_2:                              ; =>This Inner Loop Header: Depth=1
	s_and_saveexec_b64 s[0:1], vcc
	s_cbranch_execz .LBB114_1
; %bb.3:                                ;   in Loop: Header=BB114_2 Depth=1
	s_waitcnt vmcnt(0) lgkmcnt(0)
	ds_write_b64 v1, v[4:5]
	s_branch .LBB114_1
.LBB114_4:
	v_mov_b32_e32 v1, s3
	v_add_co_u32_e32 v0, vcc, s2, v2
	v_addc_co_u32_e32 v1, vcc, v1, v3, vcc
	s_waitcnt lgkmcnt(0)
	global_store_dwordx2 v[0:1], v[4:5], off
	s_endpgm
	.section	.rodata,"a",@progbits
	.p2align	6, 0x0
	.amdhsa_kernel _Z6kernelI9broadcastdLj62ELj31ELj100EEvPKT0_PS1_S1_
		.amdhsa_group_segment_fixed_size 248
		.amdhsa_private_segment_fixed_size 0
		.amdhsa_kernarg_size 280
		.amdhsa_user_sgpr_count 6
		.amdhsa_user_sgpr_private_segment_buffer 1
		.amdhsa_user_sgpr_dispatch_ptr 0
		.amdhsa_user_sgpr_queue_ptr 0
		.amdhsa_user_sgpr_kernarg_segment_ptr 1
		.amdhsa_user_sgpr_dispatch_id 0
		.amdhsa_user_sgpr_flat_scratch_init 0
		.amdhsa_user_sgpr_private_segment_size 0
		.amdhsa_uses_dynamic_stack 0
		.amdhsa_system_sgpr_private_segment_wavefront_offset 0
		.amdhsa_system_sgpr_workgroup_id_x 1
		.amdhsa_system_sgpr_workgroup_id_y 0
		.amdhsa_system_sgpr_workgroup_id_z 0
		.amdhsa_system_sgpr_workgroup_info 0
		.amdhsa_system_vgpr_workitem_id 0
		.amdhsa_next_free_vgpr 6
		.amdhsa_next_free_sgpr 8
		.amdhsa_reserve_vcc 1
		.amdhsa_reserve_flat_scratch 0
		.amdhsa_float_round_mode_32 0
		.amdhsa_float_round_mode_16_64 0
		.amdhsa_float_denorm_mode_32 3
		.amdhsa_float_denorm_mode_16_64 3
		.amdhsa_dx10_clamp 1
		.amdhsa_ieee_mode 1
		.amdhsa_fp16_overflow 0
		.amdhsa_exception_fp_ieee_invalid_op 0
		.amdhsa_exception_fp_denorm_src 0
		.amdhsa_exception_fp_ieee_div_zero 0
		.amdhsa_exception_fp_ieee_overflow 0
		.amdhsa_exception_fp_ieee_underflow 0
		.amdhsa_exception_fp_ieee_inexact 0
		.amdhsa_exception_int_div_zero 0
	.end_amdhsa_kernel
	.section	.text._Z6kernelI9broadcastdLj62ELj31ELj100EEvPKT0_PS1_S1_,"axG",@progbits,_Z6kernelI9broadcastdLj62ELj31ELj100EEvPKT0_PS1_S1_,comdat
.Lfunc_end114:
	.size	_Z6kernelI9broadcastdLj62ELj31ELj100EEvPKT0_PS1_S1_, .Lfunc_end114-_Z6kernelI9broadcastdLj62ELj31ELj100EEvPKT0_PS1_S1_
                                        ; -- End function
	.set _Z6kernelI9broadcastdLj62ELj31ELj100EEvPKT0_PS1_S1_.num_vgpr, 6
	.set _Z6kernelI9broadcastdLj62ELj31ELj100EEvPKT0_PS1_S1_.num_agpr, 0
	.set _Z6kernelI9broadcastdLj62ELj31ELj100EEvPKT0_PS1_S1_.numbered_sgpr, 8
	.set _Z6kernelI9broadcastdLj62ELj31ELj100EEvPKT0_PS1_S1_.num_named_barrier, 0
	.set _Z6kernelI9broadcastdLj62ELj31ELj100EEvPKT0_PS1_S1_.private_seg_size, 0
	.set _Z6kernelI9broadcastdLj62ELj31ELj100EEvPKT0_PS1_S1_.uses_vcc, 1
	.set _Z6kernelI9broadcastdLj62ELj31ELj100EEvPKT0_PS1_S1_.uses_flat_scratch, 0
	.set _Z6kernelI9broadcastdLj62ELj31ELj100EEvPKT0_PS1_S1_.has_dyn_sized_stack, 0
	.set _Z6kernelI9broadcastdLj62ELj31ELj100EEvPKT0_PS1_S1_.has_recursion, 0
	.set _Z6kernelI9broadcastdLj62ELj31ELj100EEvPKT0_PS1_S1_.has_indirect_call, 0
	.section	.AMDGPU.csdata,"",@progbits
; Kernel info:
; codeLenInByte = 200
; TotalNumSgprs: 12
; NumVgprs: 6
; ScratchSize: 0
; MemoryBound: 0
; FloatMode: 240
; IeeeMode: 1
; LDSByteSize: 248 bytes/workgroup (compile time only)
; SGPRBlocks: 1
; VGPRBlocks: 1
; NumSGPRsForWavesPerEU: 12
; NumVGPRsForWavesPerEU: 6
; Occupancy: 10
; WaveLimiterHint : 0
; COMPUTE_PGM_RSRC2:SCRATCH_EN: 0
; COMPUTE_PGM_RSRC2:USER_SGPR: 6
; COMPUTE_PGM_RSRC2:TRAP_HANDLER: 0
; COMPUTE_PGM_RSRC2:TGID_X_EN: 1
; COMPUTE_PGM_RSRC2:TGID_Y_EN: 0
; COMPUTE_PGM_RSRC2:TGID_Z_EN: 0
; COMPUTE_PGM_RSRC2:TIDIG_COMP_CNT: 0
	.section	.text._Z6kernelI9broadcastdLj256ELj32ELj100EEvPKT0_PS1_S1_,"axG",@progbits,_Z6kernelI9broadcastdLj256ELj32ELj100EEvPKT0_PS1_S1_,comdat
	.protected	_Z6kernelI9broadcastdLj256ELj32ELj100EEvPKT0_PS1_S1_ ; -- Begin function _Z6kernelI9broadcastdLj256ELj32ELj100EEvPKT0_PS1_S1_
	.globl	_Z6kernelI9broadcastdLj256ELj32ELj100EEvPKT0_PS1_S1_
	.p2align	8
	.type	_Z6kernelI9broadcastdLj256ELj32ELj100EEvPKT0_PS1_S1_,@function
_Z6kernelI9broadcastdLj256ELj32ELj100EEvPKT0_PS1_S1_: ; @_Z6kernelI9broadcastdLj256ELj32ELj100EEvPKT0_PS1_S1_
; %bb.0:
	s_load_dword s7, s[4:5], 0x24
	s_load_dwordx4 s[0:3], s[4:5], 0x0
	v_mov_b32_e32 v1, 0
	v_mbcnt_lo_u32_b32 v4, -1, 0
	v_mbcnt_hi_u32_b32 v4, -1, v4
	s_waitcnt lgkmcnt(0)
	s_and_b32 s4, s7, 0xffff
	s_mul_i32 s6, s6, s4
	v_add_u32_e32 v0, s6, v0
	v_lshlrev_b64 v[0:1], 3, v[0:1]
	v_mov_b32_e32 v3, s1
	v_add_co_u32_e32 v2, vcc, s0, v0
	v_addc_co_u32_e32 v3, vcc, v3, v1, vcc
	global_load_dwordx2 v[2:3], v[2:3], off
	v_lshlrev_b32_e32 v4, 2, v4
	v_and_b32_e32 v4, 0x180, v4
	s_movk_i32 s0, 0x64
.LBB115_1:                              ; =>This Inner Loop Header: Depth=1
	s_waitcnt vmcnt(0) lgkmcnt(1)
	ds_bpermute_b32 v2, v4, v2
	s_waitcnt lgkmcnt(1)
	ds_bpermute_b32 v3, v4, v3
	s_add_i32 s0, s0, -1
	s_cmp_lg_u32 s0, 0
	s_cbranch_scc1 .LBB115_1
; %bb.2:
	v_mov_b32_e32 v4, s3
	v_add_co_u32_e32 v0, vcc, s2, v0
	v_addc_co_u32_e32 v1, vcc, v4, v1, vcc
	s_waitcnt lgkmcnt(0)
	global_store_dwordx2 v[0:1], v[2:3], off
	s_endpgm
	.section	.rodata,"a",@progbits
	.p2align	6, 0x0
	.amdhsa_kernel _Z6kernelI9broadcastdLj256ELj32ELj100EEvPKT0_PS1_S1_
		.amdhsa_group_segment_fixed_size 0
		.amdhsa_private_segment_fixed_size 0
		.amdhsa_kernarg_size 280
		.amdhsa_user_sgpr_count 6
		.amdhsa_user_sgpr_private_segment_buffer 1
		.amdhsa_user_sgpr_dispatch_ptr 0
		.amdhsa_user_sgpr_queue_ptr 0
		.amdhsa_user_sgpr_kernarg_segment_ptr 1
		.amdhsa_user_sgpr_dispatch_id 0
		.amdhsa_user_sgpr_flat_scratch_init 0
		.amdhsa_user_sgpr_private_segment_size 0
		.amdhsa_uses_dynamic_stack 0
		.amdhsa_system_sgpr_private_segment_wavefront_offset 0
		.amdhsa_system_sgpr_workgroup_id_x 1
		.amdhsa_system_sgpr_workgroup_id_y 0
		.amdhsa_system_sgpr_workgroup_id_z 0
		.amdhsa_system_sgpr_workgroup_info 0
		.amdhsa_system_vgpr_workitem_id 0
		.amdhsa_next_free_vgpr 5
		.amdhsa_next_free_sgpr 8
		.amdhsa_reserve_vcc 1
		.amdhsa_reserve_flat_scratch 0
		.amdhsa_float_round_mode_32 0
		.amdhsa_float_round_mode_16_64 0
		.amdhsa_float_denorm_mode_32 3
		.amdhsa_float_denorm_mode_16_64 3
		.amdhsa_dx10_clamp 1
		.amdhsa_ieee_mode 1
		.amdhsa_fp16_overflow 0
		.amdhsa_exception_fp_ieee_invalid_op 0
		.amdhsa_exception_fp_denorm_src 0
		.amdhsa_exception_fp_ieee_div_zero 0
		.amdhsa_exception_fp_ieee_overflow 0
		.amdhsa_exception_fp_ieee_underflow 0
		.amdhsa_exception_fp_ieee_inexact 0
		.amdhsa_exception_int_div_zero 0
	.end_amdhsa_kernel
	.section	.text._Z6kernelI9broadcastdLj256ELj32ELj100EEvPKT0_PS1_S1_,"axG",@progbits,_Z6kernelI9broadcastdLj256ELj32ELj100EEvPKT0_PS1_S1_,comdat
.Lfunc_end115:
	.size	_Z6kernelI9broadcastdLj256ELj32ELj100EEvPKT0_PS1_S1_, .Lfunc_end115-_Z6kernelI9broadcastdLj256ELj32ELj100EEvPKT0_PS1_S1_
                                        ; -- End function
	.set _Z6kernelI9broadcastdLj256ELj32ELj100EEvPKT0_PS1_S1_.num_vgpr, 5
	.set _Z6kernelI9broadcastdLj256ELj32ELj100EEvPKT0_PS1_S1_.num_agpr, 0
	.set _Z6kernelI9broadcastdLj256ELj32ELj100EEvPKT0_PS1_S1_.numbered_sgpr, 8
	.set _Z6kernelI9broadcastdLj256ELj32ELj100EEvPKT0_PS1_S1_.num_named_barrier, 0
	.set _Z6kernelI9broadcastdLj256ELj32ELj100EEvPKT0_PS1_S1_.private_seg_size, 0
	.set _Z6kernelI9broadcastdLj256ELj32ELj100EEvPKT0_PS1_S1_.uses_vcc, 1
	.set _Z6kernelI9broadcastdLj256ELj32ELj100EEvPKT0_PS1_S1_.uses_flat_scratch, 0
	.set _Z6kernelI9broadcastdLj256ELj32ELj100EEvPKT0_PS1_S1_.has_dyn_sized_stack, 0
	.set _Z6kernelI9broadcastdLj256ELj32ELj100EEvPKT0_PS1_S1_.has_recursion, 0
	.set _Z6kernelI9broadcastdLj256ELj32ELj100EEvPKT0_PS1_S1_.has_indirect_call, 0
	.section	.AMDGPU.csdata,"",@progbits
; Kernel info:
; codeLenInByte = 164
; TotalNumSgprs: 12
; NumVgprs: 5
; ScratchSize: 0
; MemoryBound: 0
; FloatMode: 240
; IeeeMode: 1
; LDSByteSize: 0 bytes/workgroup (compile time only)
; SGPRBlocks: 1
; VGPRBlocks: 1
; NumSGPRsForWavesPerEU: 12
; NumVGPRsForWavesPerEU: 5
; Occupancy: 10
; WaveLimiterHint : 0
; COMPUTE_PGM_RSRC2:SCRATCH_EN: 0
; COMPUTE_PGM_RSRC2:USER_SGPR: 6
; COMPUTE_PGM_RSRC2:TRAP_HANDLER: 0
; COMPUTE_PGM_RSRC2:TGID_X_EN: 1
; COMPUTE_PGM_RSRC2:TGID_Y_EN: 0
; COMPUTE_PGM_RSRC2:TGID_Z_EN: 0
; COMPUTE_PGM_RSRC2:TIDIG_COMP_CNT: 0
	.section	.text._Z6kernelI9broadcastdLj63ELj63ELj100EEvPKT0_PS1_S1_,"axG",@progbits,_Z6kernelI9broadcastdLj63ELj63ELj100EEvPKT0_PS1_S1_,comdat
	.protected	_Z6kernelI9broadcastdLj63ELj63ELj100EEvPKT0_PS1_S1_ ; -- Begin function _Z6kernelI9broadcastdLj63ELj63ELj100EEvPKT0_PS1_S1_
	.globl	_Z6kernelI9broadcastdLj63ELj63ELj100EEvPKT0_PS1_S1_
	.p2align	8
	.type	_Z6kernelI9broadcastdLj63ELj63ELj100EEvPKT0_PS1_S1_,@function
_Z6kernelI9broadcastdLj63ELj63ELj100EEvPKT0_PS1_S1_: ; @_Z6kernelI9broadcastdLj63ELj63ELj100EEvPKT0_PS1_S1_
; %bb.0:
	s_load_dword s7, s[4:5], 0x24
	s_load_dwordx4 s[0:3], s[4:5], 0x0
	v_mov_b32_e32 v1, 0
	s_waitcnt lgkmcnt(0)
	s_and_b32 s4, s7, 0xffff
	s_mul_i32 s6, s6, s4
	v_add_u32_e32 v0, s6, v0
	v_lshlrev_b64 v[2:3], 3, v[0:1]
	v_mov_b32_e32 v0, s1
	v_add_co_u32_e32 v4, vcc, s0, v2
	v_addc_co_u32_e32 v5, vcc, v0, v3, vcc
	global_load_dwordx2 v[4:5], v[4:5], off
	v_mbcnt_lo_u32_b32 v0, -1, 0
	v_mbcnt_hi_u32_b32 v0, -1, v0
	s_mov_b32 s0, 0xbefbefbf
	v_mul_lo_u32 v0, v0, s0
	s_mov_b32 s0, 0x4104105
	s_movk_i32 s4, 0x64
	v_cmp_gt_u32_e32 vcc, s0, v0
	s_branch .LBB116_2
.LBB116_1:                              ;   in Loop: Header=BB116_2 Depth=1
	s_or_b64 exec, exec, s[0:1]
	; wave barrier
	s_waitcnt vmcnt(0) lgkmcnt(0)
	ds_read_b64 v[4:5], v1
	s_add_i32 s4, s4, -1
	s_cmp_lg_u32 s4, 0
	s_cbranch_scc0 .LBB116_4
.LBB116_2:                              ; =>This Inner Loop Header: Depth=1
	s_and_saveexec_b64 s[0:1], vcc
	s_cbranch_execz .LBB116_1
; %bb.3:                                ;   in Loop: Header=BB116_2 Depth=1
	s_waitcnt vmcnt(0) lgkmcnt(0)
	ds_write_b64 v1, v[4:5]
	s_branch .LBB116_1
.LBB116_4:
	v_mov_b32_e32 v1, s3
	v_add_co_u32_e32 v0, vcc, s2, v2
	v_addc_co_u32_e32 v1, vcc, v1, v3, vcc
	s_waitcnt lgkmcnt(0)
	global_store_dwordx2 v[0:1], v[4:5], off
	s_endpgm
	.section	.rodata,"a",@progbits
	.p2align	6, 0x0
	.amdhsa_kernel _Z6kernelI9broadcastdLj63ELj63ELj100EEvPKT0_PS1_S1_
		.amdhsa_group_segment_fixed_size 504
		.amdhsa_private_segment_fixed_size 0
		.amdhsa_kernarg_size 280
		.amdhsa_user_sgpr_count 6
		.amdhsa_user_sgpr_private_segment_buffer 1
		.amdhsa_user_sgpr_dispatch_ptr 0
		.amdhsa_user_sgpr_queue_ptr 0
		.amdhsa_user_sgpr_kernarg_segment_ptr 1
		.amdhsa_user_sgpr_dispatch_id 0
		.amdhsa_user_sgpr_flat_scratch_init 0
		.amdhsa_user_sgpr_private_segment_size 0
		.amdhsa_uses_dynamic_stack 0
		.amdhsa_system_sgpr_private_segment_wavefront_offset 0
		.amdhsa_system_sgpr_workgroup_id_x 1
		.amdhsa_system_sgpr_workgroup_id_y 0
		.amdhsa_system_sgpr_workgroup_id_z 0
		.amdhsa_system_sgpr_workgroup_info 0
		.amdhsa_system_vgpr_workitem_id 0
		.amdhsa_next_free_vgpr 6
		.amdhsa_next_free_sgpr 8
		.amdhsa_reserve_vcc 1
		.amdhsa_reserve_flat_scratch 0
		.amdhsa_float_round_mode_32 0
		.amdhsa_float_round_mode_16_64 0
		.amdhsa_float_denorm_mode_32 3
		.amdhsa_float_denorm_mode_16_64 3
		.amdhsa_dx10_clamp 1
		.amdhsa_ieee_mode 1
		.amdhsa_fp16_overflow 0
		.amdhsa_exception_fp_ieee_invalid_op 0
		.amdhsa_exception_fp_denorm_src 0
		.amdhsa_exception_fp_ieee_div_zero 0
		.amdhsa_exception_fp_ieee_overflow 0
		.amdhsa_exception_fp_ieee_underflow 0
		.amdhsa_exception_fp_ieee_inexact 0
		.amdhsa_exception_int_div_zero 0
	.end_amdhsa_kernel
	.section	.text._Z6kernelI9broadcastdLj63ELj63ELj100EEvPKT0_PS1_S1_,"axG",@progbits,_Z6kernelI9broadcastdLj63ELj63ELj100EEvPKT0_PS1_S1_,comdat
.Lfunc_end116:
	.size	_Z6kernelI9broadcastdLj63ELj63ELj100EEvPKT0_PS1_S1_, .Lfunc_end116-_Z6kernelI9broadcastdLj63ELj63ELj100EEvPKT0_PS1_S1_
                                        ; -- End function
	.set _Z6kernelI9broadcastdLj63ELj63ELj100EEvPKT0_PS1_S1_.num_vgpr, 6
	.set _Z6kernelI9broadcastdLj63ELj63ELj100EEvPKT0_PS1_S1_.num_agpr, 0
	.set _Z6kernelI9broadcastdLj63ELj63ELj100EEvPKT0_PS1_S1_.numbered_sgpr, 8
	.set _Z6kernelI9broadcastdLj63ELj63ELj100EEvPKT0_PS1_S1_.num_named_barrier, 0
	.set _Z6kernelI9broadcastdLj63ELj63ELj100EEvPKT0_PS1_S1_.private_seg_size, 0
	.set _Z6kernelI9broadcastdLj63ELj63ELj100EEvPKT0_PS1_S1_.uses_vcc, 1
	.set _Z6kernelI9broadcastdLj63ELj63ELj100EEvPKT0_PS1_S1_.uses_flat_scratch, 0
	.set _Z6kernelI9broadcastdLj63ELj63ELj100EEvPKT0_PS1_S1_.has_dyn_sized_stack, 0
	.set _Z6kernelI9broadcastdLj63ELj63ELj100EEvPKT0_PS1_S1_.has_recursion, 0
	.set _Z6kernelI9broadcastdLj63ELj63ELj100EEvPKT0_PS1_S1_.has_indirect_call, 0
	.section	.AMDGPU.csdata,"",@progbits
; Kernel info:
; codeLenInByte = 200
; TotalNumSgprs: 12
; NumVgprs: 6
; ScratchSize: 0
; MemoryBound: 0
; FloatMode: 240
; IeeeMode: 1
; LDSByteSize: 504 bytes/workgroup (compile time only)
; SGPRBlocks: 1
; VGPRBlocks: 1
; NumSGPRsForWavesPerEU: 12
; NumVGPRsForWavesPerEU: 6
; Occupancy: 10
; WaveLimiterHint : 0
; COMPUTE_PGM_RSRC2:SCRATCH_EN: 0
; COMPUTE_PGM_RSRC2:USER_SGPR: 6
; COMPUTE_PGM_RSRC2:TRAP_HANDLER: 0
; COMPUTE_PGM_RSRC2:TGID_X_EN: 1
; COMPUTE_PGM_RSRC2:TGID_Y_EN: 0
; COMPUTE_PGM_RSRC2:TGID_Z_EN: 0
; COMPUTE_PGM_RSRC2:TIDIG_COMP_CNT: 0
	.section	.text._Z6kernelI9broadcastdLj64ELj64ELj100EEvPKT0_PS1_S1_,"axG",@progbits,_Z6kernelI9broadcastdLj64ELj64ELj100EEvPKT0_PS1_S1_,comdat
	.protected	_Z6kernelI9broadcastdLj64ELj64ELj100EEvPKT0_PS1_S1_ ; -- Begin function _Z6kernelI9broadcastdLj64ELj64ELj100EEvPKT0_PS1_S1_
	.globl	_Z6kernelI9broadcastdLj64ELj64ELj100EEvPKT0_PS1_S1_
	.p2align	8
	.type	_Z6kernelI9broadcastdLj64ELj64ELj100EEvPKT0_PS1_S1_,@function
_Z6kernelI9broadcastdLj64ELj64ELj100EEvPKT0_PS1_S1_: ; @_Z6kernelI9broadcastdLj64ELj64ELj100EEvPKT0_PS1_S1_
; %bb.0:
	s_load_dword s7, s[4:5], 0x24
	s_load_dwordx4 s[0:3], s[4:5], 0x0
	v_mov_b32_e32 v1, 0
	v_mbcnt_lo_u32_b32 v4, -1, 0
	v_mbcnt_hi_u32_b32 v4, -1, v4
	s_waitcnt lgkmcnt(0)
	s_and_b32 s4, s7, 0xffff
	s_mul_i32 s6, s6, s4
	v_add_u32_e32 v0, s6, v0
	v_lshlrev_b64 v[0:1], 3, v[0:1]
	v_mov_b32_e32 v3, s1
	v_add_co_u32_e32 v2, vcc, s0, v0
	v_addc_co_u32_e32 v3, vcc, v3, v1, vcc
	global_load_dwordx2 v[2:3], v[2:3], off
	v_lshlrev_b32_e32 v4, 2, v4
	v_and_b32_e32 v4, 0x100, v4
	s_movk_i32 s0, 0x64
.LBB117_1:                              ; =>This Inner Loop Header: Depth=1
	s_waitcnt vmcnt(0) lgkmcnt(1)
	ds_bpermute_b32 v2, v4, v2
	s_waitcnt lgkmcnt(1)
	ds_bpermute_b32 v3, v4, v3
	s_add_i32 s0, s0, -1
	s_cmp_lg_u32 s0, 0
	s_cbranch_scc1 .LBB117_1
; %bb.2:
	v_mov_b32_e32 v4, s3
	v_add_co_u32_e32 v0, vcc, s2, v0
	v_addc_co_u32_e32 v1, vcc, v4, v1, vcc
	s_waitcnt lgkmcnt(0)
	global_store_dwordx2 v[0:1], v[2:3], off
	s_endpgm
	.section	.rodata,"a",@progbits
	.p2align	6, 0x0
	.amdhsa_kernel _Z6kernelI9broadcastdLj64ELj64ELj100EEvPKT0_PS1_S1_
		.amdhsa_group_segment_fixed_size 0
		.amdhsa_private_segment_fixed_size 0
		.amdhsa_kernarg_size 280
		.amdhsa_user_sgpr_count 6
		.amdhsa_user_sgpr_private_segment_buffer 1
		.amdhsa_user_sgpr_dispatch_ptr 0
		.amdhsa_user_sgpr_queue_ptr 0
		.amdhsa_user_sgpr_kernarg_segment_ptr 1
		.amdhsa_user_sgpr_dispatch_id 0
		.amdhsa_user_sgpr_flat_scratch_init 0
		.amdhsa_user_sgpr_private_segment_size 0
		.amdhsa_uses_dynamic_stack 0
		.amdhsa_system_sgpr_private_segment_wavefront_offset 0
		.amdhsa_system_sgpr_workgroup_id_x 1
		.amdhsa_system_sgpr_workgroup_id_y 0
		.amdhsa_system_sgpr_workgroup_id_z 0
		.amdhsa_system_sgpr_workgroup_info 0
		.amdhsa_system_vgpr_workitem_id 0
		.amdhsa_next_free_vgpr 5
		.amdhsa_next_free_sgpr 8
		.amdhsa_reserve_vcc 1
		.amdhsa_reserve_flat_scratch 0
		.amdhsa_float_round_mode_32 0
		.amdhsa_float_round_mode_16_64 0
		.amdhsa_float_denorm_mode_32 3
		.amdhsa_float_denorm_mode_16_64 3
		.amdhsa_dx10_clamp 1
		.amdhsa_ieee_mode 1
		.amdhsa_fp16_overflow 0
		.amdhsa_exception_fp_ieee_invalid_op 0
		.amdhsa_exception_fp_denorm_src 0
		.amdhsa_exception_fp_ieee_div_zero 0
		.amdhsa_exception_fp_ieee_overflow 0
		.amdhsa_exception_fp_ieee_underflow 0
		.amdhsa_exception_fp_ieee_inexact 0
		.amdhsa_exception_int_div_zero 0
	.end_amdhsa_kernel
	.section	.text._Z6kernelI9broadcastdLj64ELj64ELj100EEvPKT0_PS1_S1_,"axG",@progbits,_Z6kernelI9broadcastdLj64ELj64ELj100EEvPKT0_PS1_S1_,comdat
.Lfunc_end117:
	.size	_Z6kernelI9broadcastdLj64ELj64ELj100EEvPKT0_PS1_S1_, .Lfunc_end117-_Z6kernelI9broadcastdLj64ELj64ELj100EEvPKT0_PS1_S1_
                                        ; -- End function
	.set _Z6kernelI9broadcastdLj64ELj64ELj100EEvPKT0_PS1_S1_.num_vgpr, 5
	.set _Z6kernelI9broadcastdLj64ELj64ELj100EEvPKT0_PS1_S1_.num_agpr, 0
	.set _Z6kernelI9broadcastdLj64ELj64ELj100EEvPKT0_PS1_S1_.numbered_sgpr, 8
	.set _Z6kernelI9broadcastdLj64ELj64ELj100EEvPKT0_PS1_S1_.num_named_barrier, 0
	.set _Z6kernelI9broadcastdLj64ELj64ELj100EEvPKT0_PS1_S1_.private_seg_size, 0
	.set _Z6kernelI9broadcastdLj64ELj64ELj100EEvPKT0_PS1_S1_.uses_vcc, 1
	.set _Z6kernelI9broadcastdLj64ELj64ELj100EEvPKT0_PS1_S1_.uses_flat_scratch, 0
	.set _Z6kernelI9broadcastdLj64ELj64ELj100EEvPKT0_PS1_S1_.has_dyn_sized_stack, 0
	.set _Z6kernelI9broadcastdLj64ELj64ELj100EEvPKT0_PS1_S1_.has_recursion, 0
	.set _Z6kernelI9broadcastdLj64ELj64ELj100EEvPKT0_PS1_S1_.has_indirect_call, 0
	.section	.AMDGPU.csdata,"",@progbits
; Kernel info:
; codeLenInByte = 164
; TotalNumSgprs: 12
; NumVgprs: 5
; ScratchSize: 0
; MemoryBound: 0
; FloatMode: 240
; IeeeMode: 1
; LDSByteSize: 0 bytes/workgroup (compile time only)
; SGPRBlocks: 1
; VGPRBlocks: 1
; NumSGPRsForWavesPerEU: 12
; NumVGPRsForWavesPerEU: 5
; Occupancy: 10
; WaveLimiterHint : 0
; COMPUTE_PGM_RSRC2:SCRATCH_EN: 0
; COMPUTE_PGM_RSRC2:USER_SGPR: 6
; COMPUTE_PGM_RSRC2:TRAP_HANDLER: 0
; COMPUTE_PGM_RSRC2:TGID_X_EN: 1
; COMPUTE_PGM_RSRC2:TGID_Y_EN: 0
; COMPUTE_PGM_RSRC2:TGID_Z_EN: 0
; COMPUTE_PGM_RSRC2:TIDIG_COMP_CNT: 0
	.section	.text._Z6kernelI9broadcastdLj128ELj64ELj100EEvPKT0_PS1_S1_,"axG",@progbits,_Z6kernelI9broadcastdLj128ELj64ELj100EEvPKT0_PS1_S1_,comdat
	.protected	_Z6kernelI9broadcastdLj128ELj64ELj100EEvPKT0_PS1_S1_ ; -- Begin function _Z6kernelI9broadcastdLj128ELj64ELj100EEvPKT0_PS1_S1_
	.globl	_Z6kernelI9broadcastdLj128ELj64ELj100EEvPKT0_PS1_S1_
	.p2align	8
	.type	_Z6kernelI9broadcastdLj128ELj64ELj100EEvPKT0_PS1_S1_,@function
_Z6kernelI9broadcastdLj128ELj64ELj100EEvPKT0_PS1_S1_: ; @_Z6kernelI9broadcastdLj128ELj64ELj100EEvPKT0_PS1_S1_
; %bb.0:
	s_load_dword s7, s[4:5], 0x24
	s_load_dwordx4 s[0:3], s[4:5], 0x0
	v_mov_b32_e32 v1, 0
	v_mbcnt_lo_u32_b32 v4, -1, 0
	v_mbcnt_hi_u32_b32 v4, -1, v4
	s_waitcnt lgkmcnt(0)
	s_and_b32 s4, s7, 0xffff
	s_mul_i32 s6, s6, s4
	v_add_u32_e32 v0, s6, v0
	v_lshlrev_b64 v[0:1], 3, v[0:1]
	v_mov_b32_e32 v3, s1
	v_add_co_u32_e32 v2, vcc, s0, v0
	v_addc_co_u32_e32 v3, vcc, v3, v1, vcc
	global_load_dwordx2 v[2:3], v[2:3], off
	v_lshlrev_b32_e32 v4, 2, v4
	v_and_b32_e32 v4, 0x100, v4
	s_movk_i32 s0, 0x64
.LBB118_1:                              ; =>This Inner Loop Header: Depth=1
	s_waitcnt vmcnt(0) lgkmcnt(1)
	ds_bpermute_b32 v2, v4, v2
	s_waitcnt lgkmcnt(1)
	ds_bpermute_b32 v3, v4, v3
	s_add_i32 s0, s0, -1
	s_cmp_lg_u32 s0, 0
	s_cbranch_scc1 .LBB118_1
; %bb.2:
	v_mov_b32_e32 v4, s3
	v_add_co_u32_e32 v0, vcc, s2, v0
	v_addc_co_u32_e32 v1, vcc, v4, v1, vcc
	s_waitcnt lgkmcnt(0)
	global_store_dwordx2 v[0:1], v[2:3], off
	s_endpgm
	.section	.rodata,"a",@progbits
	.p2align	6, 0x0
	.amdhsa_kernel _Z6kernelI9broadcastdLj128ELj64ELj100EEvPKT0_PS1_S1_
		.amdhsa_group_segment_fixed_size 0
		.amdhsa_private_segment_fixed_size 0
		.amdhsa_kernarg_size 280
		.amdhsa_user_sgpr_count 6
		.amdhsa_user_sgpr_private_segment_buffer 1
		.amdhsa_user_sgpr_dispatch_ptr 0
		.amdhsa_user_sgpr_queue_ptr 0
		.amdhsa_user_sgpr_kernarg_segment_ptr 1
		.amdhsa_user_sgpr_dispatch_id 0
		.amdhsa_user_sgpr_flat_scratch_init 0
		.amdhsa_user_sgpr_private_segment_size 0
		.amdhsa_uses_dynamic_stack 0
		.amdhsa_system_sgpr_private_segment_wavefront_offset 0
		.amdhsa_system_sgpr_workgroup_id_x 1
		.amdhsa_system_sgpr_workgroup_id_y 0
		.amdhsa_system_sgpr_workgroup_id_z 0
		.amdhsa_system_sgpr_workgroup_info 0
		.amdhsa_system_vgpr_workitem_id 0
		.amdhsa_next_free_vgpr 5
		.amdhsa_next_free_sgpr 8
		.amdhsa_reserve_vcc 1
		.amdhsa_reserve_flat_scratch 0
		.amdhsa_float_round_mode_32 0
		.amdhsa_float_round_mode_16_64 0
		.amdhsa_float_denorm_mode_32 3
		.amdhsa_float_denorm_mode_16_64 3
		.amdhsa_dx10_clamp 1
		.amdhsa_ieee_mode 1
		.amdhsa_fp16_overflow 0
		.amdhsa_exception_fp_ieee_invalid_op 0
		.amdhsa_exception_fp_denorm_src 0
		.amdhsa_exception_fp_ieee_div_zero 0
		.amdhsa_exception_fp_ieee_overflow 0
		.amdhsa_exception_fp_ieee_underflow 0
		.amdhsa_exception_fp_ieee_inexact 0
		.amdhsa_exception_int_div_zero 0
	.end_amdhsa_kernel
	.section	.text._Z6kernelI9broadcastdLj128ELj64ELj100EEvPKT0_PS1_S1_,"axG",@progbits,_Z6kernelI9broadcastdLj128ELj64ELj100EEvPKT0_PS1_S1_,comdat
.Lfunc_end118:
	.size	_Z6kernelI9broadcastdLj128ELj64ELj100EEvPKT0_PS1_S1_, .Lfunc_end118-_Z6kernelI9broadcastdLj128ELj64ELj100EEvPKT0_PS1_S1_
                                        ; -- End function
	.set _Z6kernelI9broadcastdLj128ELj64ELj100EEvPKT0_PS1_S1_.num_vgpr, 5
	.set _Z6kernelI9broadcastdLj128ELj64ELj100EEvPKT0_PS1_S1_.num_agpr, 0
	.set _Z6kernelI9broadcastdLj128ELj64ELj100EEvPKT0_PS1_S1_.numbered_sgpr, 8
	.set _Z6kernelI9broadcastdLj128ELj64ELj100EEvPKT0_PS1_S1_.num_named_barrier, 0
	.set _Z6kernelI9broadcastdLj128ELj64ELj100EEvPKT0_PS1_S1_.private_seg_size, 0
	.set _Z6kernelI9broadcastdLj128ELj64ELj100EEvPKT0_PS1_S1_.uses_vcc, 1
	.set _Z6kernelI9broadcastdLj128ELj64ELj100EEvPKT0_PS1_S1_.uses_flat_scratch, 0
	.set _Z6kernelI9broadcastdLj128ELj64ELj100EEvPKT0_PS1_S1_.has_dyn_sized_stack, 0
	.set _Z6kernelI9broadcastdLj128ELj64ELj100EEvPKT0_PS1_S1_.has_recursion, 0
	.set _Z6kernelI9broadcastdLj128ELj64ELj100EEvPKT0_PS1_S1_.has_indirect_call, 0
	.section	.AMDGPU.csdata,"",@progbits
; Kernel info:
; codeLenInByte = 164
; TotalNumSgprs: 12
; NumVgprs: 5
; ScratchSize: 0
; MemoryBound: 0
; FloatMode: 240
; IeeeMode: 1
; LDSByteSize: 0 bytes/workgroup (compile time only)
; SGPRBlocks: 1
; VGPRBlocks: 1
; NumSGPRsForWavesPerEU: 12
; NumVGPRsForWavesPerEU: 5
; Occupancy: 10
; WaveLimiterHint : 0
; COMPUTE_PGM_RSRC2:SCRATCH_EN: 0
; COMPUTE_PGM_RSRC2:USER_SGPR: 6
; COMPUTE_PGM_RSRC2:TRAP_HANDLER: 0
; COMPUTE_PGM_RSRC2:TGID_X_EN: 1
; COMPUTE_PGM_RSRC2:TGID_Y_EN: 0
; COMPUTE_PGM_RSRC2:TGID_Z_EN: 0
; COMPUTE_PGM_RSRC2:TIDIG_COMP_CNT: 0
	.section	.text._Z6kernelI9broadcastdLj256ELj64ELj100EEvPKT0_PS1_S1_,"axG",@progbits,_Z6kernelI9broadcastdLj256ELj64ELj100EEvPKT0_PS1_S1_,comdat
	.protected	_Z6kernelI9broadcastdLj256ELj64ELj100EEvPKT0_PS1_S1_ ; -- Begin function _Z6kernelI9broadcastdLj256ELj64ELj100EEvPKT0_PS1_S1_
	.globl	_Z6kernelI9broadcastdLj256ELj64ELj100EEvPKT0_PS1_S1_
	.p2align	8
	.type	_Z6kernelI9broadcastdLj256ELj64ELj100EEvPKT0_PS1_S1_,@function
_Z6kernelI9broadcastdLj256ELj64ELj100EEvPKT0_PS1_S1_: ; @_Z6kernelI9broadcastdLj256ELj64ELj100EEvPKT0_PS1_S1_
; %bb.0:
	s_load_dword s7, s[4:5], 0x24
	s_load_dwordx4 s[0:3], s[4:5], 0x0
	v_mov_b32_e32 v1, 0
	v_mbcnt_lo_u32_b32 v4, -1, 0
	v_mbcnt_hi_u32_b32 v4, -1, v4
	s_waitcnt lgkmcnt(0)
	s_and_b32 s4, s7, 0xffff
	s_mul_i32 s6, s6, s4
	v_add_u32_e32 v0, s6, v0
	v_lshlrev_b64 v[0:1], 3, v[0:1]
	v_mov_b32_e32 v3, s1
	v_add_co_u32_e32 v2, vcc, s0, v0
	v_addc_co_u32_e32 v3, vcc, v3, v1, vcc
	global_load_dwordx2 v[2:3], v[2:3], off
	v_lshlrev_b32_e32 v4, 2, v4
	v_and_b32_e32 v4, 0x100, v4
	s_movk_i32 s0, 0x64
.LBB119_1:                              ; =>This Inner Loop Header: Depth=1
	s_waitcnt vmcnt(0) lgkmcnt(1)
	ds_bpermute_b32 v2, v4, v2
	s_waitcnt lgkmcnt(1)
	ds_bpermute_b32 v3, v4, v3
	s_add_i32 s0, s0, -1
	s_cmp_lg_u32 s0, 0
	s_cbranch_scc1 .LBB119_1
; %bb.2:
	v_mov_b32_e32 v4, s3
	v_add_co_u32_e32 v0, vcc, s2, v0
	v_addc_co_u32_e32 v1, vcc, v4, v1, vcc
	s_waitcnt lgkmcnt(0)
	global_store_dwordx2 v[0:1], v[2:3], off
	s_endpgm
	.section	.rodata,"a",@progbits
	.p2align	6, 0x0
	.amdhsa_kernel _Z6kernelI9broadcastdLj256ELj64ELj100EEvPKT0_PS1_S1_
		.amdhsa_group_segment_fixed_size 0
		.amdhsa_private_segment_fixed_size 0
		.amdhsa_kernarg_size 280
		.amdhsa_user_sgpr_count 6
		.amdhsa_user_sgpr_private_segment_buffer 1
		.amdhsa_user_sgpr_dispatch_ptr 0
		.amdhsa_user_sgpr_queue_ptr 0
		.amdhsa_user_sgpr_kernarg_segment_ptr 1
		.amdhsa_user_sgpr_dispatch_id 0
		.amdhsa_user_sgpr_flat_scratch_init 0
		.amdhsa_user_sgpr_private_segment_size 0
		.amdhsa_uses_dynamic_stack 0
		.amdhsa_system_sgpr_private_segment_wavefront_offset 0
		.amdhsa_system_sgpr_workgroup_id_x 1
		.amdhsa_system_sgpr_workgroup_id_y 0
		.amdhsa_system_sgpr_workgroup_id_z 0
		.amdhsa_system_sgpr_workgroup_info 0
		.amdhsa_system_vgpr_workitem_id 0
		.amdhsa_next_free_vgpr 5
		.amdhsa_next_free_sgpr 8
		.amdhsa_reserve_vcc 1
		.amdhsa_reserve_flat_scratch 0
		.amdhsa_float_round_mode_32 0
		.amdhsa_float_round_mode_16_64 0
		.amdhsa_float_denorm_mode_32 3
		.amdhsa_float_denorm_mode_16_64 3
		.amdhsa_dx10_clamp 1
		.amdhsa_ieee_mode 1
		.amdhsa_fp16_overflow 0
		.amdhsa_exception_fp_ieee_invalid_op 0
		.amdhsa_exception_fp_denorm_src 0
		.amdhsa_exception_fp_ieee_div_zero 0
		.amdhsa_exception_fp_ieee_overflow 0
		.amdhsa_exception_fp_ieee_underflow 0
		.amdhsa_exception_fp_ieee_inexact 0
		.amdhsa_exception_int_div_zero 0
	.end_amdhsa_kernel
	.section	.text._Z6kernelI9broadcastdLj256ELj64ELj100EEvPKT0_PS1_S1_,"axG",@progbits,_Z6kernelI9broadcastdLj256ELj64ELj100EEvPKT0_PS1_S1_,comdat
.Lfunc_end119:
	.size	_Z6kernelI9broadcastdLj256ELj64ELj100EEvPKT0_PS1_S1_, .Lfunc_end119-_Z6kernelI9broadcastdLj256ELj64ELj100EEvPKT0_PS1_S1_
                                        ; -- End function
	.set _Z6kernelI9broadcastdLj256ELj64ELj100EEvPKT0_PS1_S1_.num_vgpr, 5
	.set _Z6kernelI9broadcastdLj256ELj64ELj100EEvPKT0_PS1_S1_.num_agpr, 0
	.set _Z6kernelI9broadcastdLj256ELj64ELj100EEvPKT0_PS1_S1_.numbered_sgpr, 8
	.set _Z6kernelI9broadcastdLj256ELj64ELj100EEvPKT0_PS1_S1_.num_named_barrier, 0
	.set _Z6kernelI9broadcastdLj256ELj64ELj100EEvPKT0_PS1_S1_.private_seg_size, 0
	.set _Z6kernelI9broadcastdLj256ELj64ELj100EEvPKT0_PS1_S1_.uses_vcc, 1
	.set _Z6kernelI9broadcastdLj256ELj64ELj100EEvPKT0_PS1_S1_.uses_flat_scratch, 0
	.set _Z6kernelI9broadcastdLj256ELj64ELj100EEvPKT0_PS1_S1_.has_dyn_sized_stack, 0
	.set _Z6kernelI9broadcastdLj256ELj64ELj100EEvPKT0_PS1_S1_.has_recursion, 0
	.set _Z6kernelI9broadcastdLj256ELj64ELj100EEvPKT0_PS1_S1_.has_indirect_call, 0
	.section	.AMDGPU.csdata,"",@progbits
; Kernel info:
; codeLenInByte = 164
; TotalNumSgprs: 12
; NumVgprs: 5
; ScratchSize: 0
; MemoryBound: 0
; FloatMode: 240
; IeeeMode: 1
; LDSByteSize: 0 bytes/workgroup (compile time only)
; SGPRBlocks: 1
; VGPRBlocks: 1
; NumSGPRsForWavesPerEU: 12
; NumVGPRsForWavesPerEU: 5
; Occupancy: 10
; WaveLimiterHint : 0
; COMPUTE_PGM_RSRC2:SCRATCH_EN: 0
; COMPUTE_PGM_RSRC2:USER_SGPR: 6
; COMPUTE_PGM_RSRC2:TRAP_HANDLER: 0
; COMPUTE_PGM_RSRC2:TGID_X_EN: 1
; COMPUTE_PGM_RSRC2:TGID_Y_EN: 0
; COMPUTE_PGM_RSRC2:TGID_Z_EN: 0
; COMPUTE_PGM_RSRC2:TIDIG_COMP_CNT: 0
	.section	.text._Z6kernelI9broadcastaLj60ELj15ELj100EEvPKT0_PS1_S1_,"axG",@progbits,_Z6kernelI9broadcastaLj60ELj15ELj100EEvPKT0_PS1_S1_,comdat
	.protected	_Z6kernelI9broadcastaLj60ELj15ELj100EEvPKT0_PS1_S1_ ; -- Begin function _Z6kernelI9broadcastaLj60ELj15ELj100EEvPKT0_PS1_S1_
	.globl	_Z6kernelI9broadcastaLj60ELj15ELj100EEvPKT0_PS1_S1_
	.p2align	8
	.type	_Z6kernelI9broadcastaLj60ELj15ELj100EEvPKT0_PS1_S1_,@function
_Z6kernelI9broadcastaLj60ELj15ELj100EEvPKT0_PS1_S1_: ; @_Z6kernelI9broadcastaLj60ELj15ELj100EEvPKT0_PS1_S1_
; %bb.0:
	s_load_dword s7, s[4:5], 0x24
	s_load_dwordx4 s[0:3], s[4:5], 0x0
	v_mbcnt_lo_u32_b32 v2, -1, 0
	v_mbcnt_hi_u32_b32 v2, -1, v2
	s_waitcnt lgkmcnt(0)
	s_and_b32 s4, s7, 0xffff
	s_mul_i32 s6, s6, s4
	v_add_u32_e32 v0, s6, v0
	global_load_ubyte v1, v0, s[0:1]
	s_mov_b32 s0, 0xeeeeeeef
	v_mul_lo_u32 v3, v2, s0
	s_mov_b32 s0, 0x11111112
	v_mov_b32_e32 v2, 0
	s_movk_i32 s4, 0x64
	v_cmp_gt_u32_e32 vcc, s0, v3
	s_branch .LBB120_2
.LBB120_1:                              ;   in Loop: Header=BB120_2 Depth=1
	s_or_b64 exec, exec, s[0:1]
	; wave barrier
	s_waitcnt vmcnt(0) lgkmcnt(0)
	ds_read_u8 v1, v2
	s_add_i32 s4, s4, -1
	s_cmp_lg_u32 s4, 0
	s_cbranch_scc0 .LBB120_4
.LBB120_2:                              ; =>This Inner Loop Header: Depth=1
	s_and_saveexec_b64 s[0:1], vcc
	s_cbranch_execz .LBB120_1
; %bb.3:                                ;   in Loop: Header=BB120_2 Depth=1
	s_waitcnt vmcnt(0) lgkmcnt(0)
	ds_write_b8 v2, v1
	s_branch .LBB120_1
.LBB120_4:
	v_mov_b32_e32 v3, s3
	v_add_co_u32_e32 v2, vcc, s2, v0
	v_addc_co_u32_e32 v3, vcc, 0, v3, vcc
	s_waitcnt lgkmcnt(0)
	global_store_byte v[2:3], v1, off
	s_endpgm
	.section	.rodata,"a",@progbits
	.p2align	6, 0x0
	.amdhsa_kernel _Z6kernelI9broadcastaLj60ELj15ELj100EEvPKT0_PS1_S1_
		.amdhsa_group_segment_fixed_size 15
		.amdhsa_private_segment_fixed_size 0
		.amdhsa_kernarg_size 280
		.amdhsa_user_sgpr_count 6
		.amdhsa_user_sgpr_private_segment_buffer 1
		.amdhsa_user_sgpr_dispatch_ptr 0
		.amdhsa_user_sgpr_queue_ptr 0
		.amdhsa_user_sgpr_kernarg_segment_ptr 1
		.amdhsa_user_sgpr_dispatch_id 0
		.amdhsa_user_sgpr_flat_scratch_init 0
		.amdhsa_user_sgpr_private_segment_size 0
		.amdhsa_uses_dynamic_stack 0
		.amdhsa_system_sgpr_private_segment_wavefront_offset 0
		.amdhsa_system_sgpr_workgroup_id_x 1
		.amdhsa_system_sgpr_workgroup_id_y 0
		.amdhsa_system_sgpr_workgroup_id_z 0
		.amdhsa_system_sgpr_workgroup_info 0
		.amdhsa_system_vgpr_workitem_id 0
		.amdhsa_next_free_vgpr 4
		.amdhsa_next_free_sgpr 8
		.amdhsa_reserve_vcc 1
		.amdhsa_reserve_flat_scratch 0
		.amdhsa_float_round_mode_32 0
		.amdhsa_float_round_mode_16_64 0
		.amdhsa_float_denorm_mode_32 3
		.amdhsa_float_denorm_mode_16_64 3
		.amdhsa_dx10_clamp 1
		.amdhsa_ieee_mode 1
		.amdhsa_fp16_overflow 0
		.amdhsa_exception_fp_ieee_invalid_op 0
		.amdhsa_exception_fp_denorm_src 0
		.amdhsa_exception_fp_ieee_div_zero 0
		.amdhsa_exception_fp_ieee_overflow 0
		.amdhsa_exception_fp_ieee_underflow 0
		.amdhsa_exception_fp_ieee_inexact 0
		.amdhsa_exception_int_div_zero 0
	.end_amdhsa_kernel
	.section	.text._Z6kernelI9broadcastaLj60ELj15ELj100EEvPKT0_PS1_S1_,"axG",@progbits,_Z6kernelI9broadcastaLj60ELj15ELj100EEvPKT0_PS1_S1_,comdat
.Lfunc_end120:
	.size	_Z6kernelI9broadcastaLj60ELj15ELj100EEvPKT0_PS1_S1_, .Lfunc_end120-_Z6kernelI9broadcastaLj60ELj15ELj100EEvPKT0_PS1_S1_
                                        ; -- End function
	.set _Z6kernelI9broadcastaLj60ELj15ELj100EEvPKT0_PS1_S1_.num_vgpr, 4
	.set _Z6kernelI9broadcastaLj60ELj15ELj100EEvPKT0_PS1_S1_.num_agpr, 0
	.set _Z6kernelI9broadcastaLj60ELj15ELj100EEvPKT0_PS1_S1_.numbered_sgpr, 8
	.set _Z6kernelI9broadcastaLj60ELj15ELj100EEvPKT0_PS1_S1_.num_named_barrier, 0
	.set _Z6kernelI9broadcastaLj60ELj15ELj100EEvPKT0_PS1_S1_.private_seg_size, 0
	.set _Z6kernelI9broadcastaLj60ELj15ELj100EEvPKT0_PS1_S1_.uses_vcc, 1
	.set _Z6kernelI9broadcastaLj60ELj15ELj100EEvPKT0_PS1_S1_.uses_flat_scratch, 0
	.set _Z6kernelI9broadcastaLj60ELj15ELj100EEvPKT0_PS1_S1_.has_dyn_sized_stack, 0
	.set _Z6kernelI9broadcastaLj60ELj15ELj100EEvPKT0_PS1_S1_.has_recursion, 0
	.set _Z6kernelI9broadcastaLj60ELj15ELj100EEvPKT0_PS1_S1_.has_indirect_call, 0
	.section	.AMDGPU.csdata,"",@progbits
; Kernel info:
; codeLenInByte = 180
; TotalNumSgprs: 12
; NumVgprs: 4
; ScratchSize: 0
; MemoryBound: 0
; FloatMode: 240
; IeeeMode: 1
; LDSByteSize: 15 bytes/workgroup (compile time only)
; SGPRBlocks: 1
; VGPRBlocks: 0
; NumSGPRsForWavesPerEU: 12
; NumVGPRsForWavesPerEU: 4
; Occupancy: 10
; WaveLimiterHint : 0
; COMPUTE_PGM_RSRC2:SCRATCH_EN: 0
; COMPUTE_PGM_RSRC2:USER_SGPR: 6
; COMPUTE_PGM_RSRC2:TRAP_HANDLER: 0
; COMPUTE_PGM_RSRC2:TGID_X_EN: 1
; COMPUTE_PGM_RSRC2:TGID_Y_EN: 0
; COMPUTE_PGM_RSRC2:TGID_Z_EN: 0
; COMPUTE_PGM_RSRC2:TIDIG_COMP_CNT: 0
	.section	.text._Z6kernelI9broadcastaLj256ELj16ELj100EEvPKT0_PS1_S1_,"axG",@progbits,_Z6kernelI9broadcastaLj256ELj16ELj100EEvPKT0_PS1_S1_,comdat
	.protected	_Z6kernelI9broadcastaLj256ELj16ELj100EEvPKT0_PS1_S1_ ; -- Begin function _Z6kernelI9broadcastaLj256ELj16ELj100EEvPKT0_PS1_S1_
	.globl	_Z6kernelI9broadcastaLj256ELj16ELj100EEvPKT0_PS1_S1_
	.p2align	8
	.type	_Z6kernelI9broadcastaLj256ELj16ELj100EEvPKT0_PS1_S1_,@function
_Z6kernelI9broadcastaLj256ELj16ELj100EEvPKT0_PS1_S1_: ; @_Z6kernelI9broadcastaLj256ELj16ELj100EEvPKT0_PS1_S1_
; %bb.0:
	s_load_dword s7, s[4:5], 0x24
	s_load_dwordx4 s[0:3], s[4:5], 0x0
	v_mbcnt_lo_u32_b32 v2, -1, 0
	v_mbcnt_hi_u32_b32 v2, -1, v2
	v_lshlrev_b32_e32 v2, 2, v2
	s_waitcnt lgkmcnt(0)
	s_and_b32 s4, s7, 0xffff
	s_mul_i32 s6, s6, s4
	v_add_u32_e32 v1, s6, v0
	global_load_ubyte v0, v1, s[0:1]
	v_and_b32_e32 v2, 0x1c0, v2
	s_movk_i32 s0, 0x64
.LBB121_1:                              ; =>This Inner Loop Header: Depth=1
	s_waitcnt vmcnt(0) lgkmcnt(0)
	v_and_b32_e32 v0, 0xff, v0
	ds_bpermute_b32 v0, v2, v0
	s_add_i32 s0, s0, -1
	s_cmp_lg_u32 s0, 0
	s_cbranch_scc1 .LBB121_1
; %bb.2:
	v_mov_b32_e32 v2, s3
	v_add_co_u32_e32 v1, vcc, s2, v1
	v_addc_co_u32_e32 v2, vcc, 0, v2, vcc
	s_waitcnt lgkmcnt(0)
	global_store_byte v[1:2], v0, off
	s_endpgm
	.section	.rodata,"a",@progbits
	.p2align	6, 0x0
	.amdhsa_kernel _Z6kernelI9broadcastaLj256ELj16ELj100EEvPKT0_PS1_S1_
		.amdhsa_group_segment_fixed_size 0
		.amdhsa_private_segment_fixed_size 0
		.amdhsa_kernarg_size 280
		.amdhsa_user_sgpr_count 6
		.amdhsa_user_sgpr_private_segment_buffer 1
		.amdhsa_user_sgpr_dispatch_ptr 0
		.amdhsa_user_sgpr_queue_ptr 0
		.amdhsa_user_sgpr_kernarg_segment_ptr 1
		.amdhsa_user_sgpr_dispatch_id 0
		.amdhsa_user_sgpr_flat_scratch_init 0
		.amdhsa_user_sgpr_private_segment_size 0
		.amdhsa_uses_dynamic_stack 0
		.amdhsa_system_sgpr_private_segment_wavefront_offset 0
		.amdhsa_system_sgpr_workgroup_id_x 1
		.amdhsa_system_sgpr_workgroup_id_y 0
		.amdhsa_system_sgpr_workgroup_id_z 0
		.amdhsa_system_sgpr_workgroup_info 0
		.amdhsa_system_vgpr_workitem_id 0
		.amdhsa_next_free_vgpr 3
		.amdhsa_next_free_sgpr 8
		.amdhsa_reserve_vcc 1
		.amdhsa_reserve_flat_scratch 0
		.amdhsa_float_round_mode_32 0
		.amdhsa_float_round_mode_16_64 0
		.amdhsa_float_denorm_mode_32 3
		.amdhsa_float_denorm_mode_16_64 3
		.amdhsa_dx10_clamp 1
		.amdhsa_ieee_mode 1
		.amdhsa_fp16_overflow 0
		.amdhsa_exception_fp_ieee_invalid_op 0
		.amdhsa_exception_fp_denorm_src 0
		.amdhsa_exception_fp_ieee_div_zero 0
		.amdhsa_exception_fp_ieee_overflow 0
		.amdhsa_exception_fp_ieee_underflow 0
		.amdhsa_exception_fp_ieee_inexact 0
		.amdhsa_exception_int_div_zero 0
	.end_amdhsa_kernel
	.section	.text._Z6kernelI9broadcastaLj256ELj16ELj100EEvPKT0_PS1_S1_,"axG",@progbits,_Z6kernelI9broadcastaLj256ELj16ELj100EEvPKT0_PS1_S1_,comdat
.Lfunc_end121:
	.size	_Z6kernelI9broadcastaLj256ELj16ELj100EEvPKT0_PS1_S1_, .Lfunc_end121-_Z6kernelI9broadcastaLj256ELj16ELj100EEvPKT0_PS1_S1_
                                        ; -- End function
	.set _Z6kernelI9broadcastaLj256ELj16ELj100EEvPKT0_PS1_S1_.num_vgpr, 3
	.set _Z6kernelI9broadcastaLj256ELj16ELj100EEvPKT0_PS1_S1_.num_agpr, 0
	.set _Z6kernelI9broadcastaLj256ELj16ELj100EEvPKT0_PS1_S1_.numbered_sgpr, 8
	.set _Z6kernelI9broadcastaLj256ELj16ELj100EEvPKT0_PS1_S1_.num_named_barrier, 0
	.set _Z6kernelI9broadcastaLj256ELj16ELj100EEvPKT0_PS1_S1_.private_seg_size, 0
	.set _Z6kernelI9broadcastaLj256ELj16ELj100EEvPKT0_PS1_S1_.uses_vcc, 1
	.set _Z6kernelI9broadcastaLj256ELj16ELj100EEvPKT0_PS1_S1_.uses_flat_scratch, 0
	.set _Z6kernelI9broadcastaLj256ELj16ELj100EEvPKT0_PS1_S1_.has_dyn_sized_stack, 0
	.set _Z6kernelI9broadcastaLj256ELj16ELj100EEvPKT0_PS1_S1_.has_recursion, 0
	.set _Z6kernelI9broadcastaLj256ELj16ELj100EEvPKT0_PS1_S1_.has_indirect_call, 0
	.section	.AMDGPU.csdata,"",@progbits
; Kernel info:
; codeLenInByte = 136
; TotalNumSgprs: 12
; NumVgprs: 3
; ScratchSize: 0
; MemoryBound: 0
; FloatMode: 240
; IeeeMode: 1
; LDSByteSize: 0 bytes/workgroup (compile time only)
; SGPRBlocks: 1
; VGPRBlocks: 0
; NumSGPRsForWavesPerEU: 12
; NumVGPRsForWavesPerEU: 3
; Occupancy: 10
; WaveLimiterHint : 0
; COMPUTE_PGM_RSRC2:SCRATCH_EN: 0
; COMPUTE_PGM_RSRC2:USER_SGPR: 6
; COMPUTE_PGM_RSRC2:TRAP_HANDLER: 0
; COMPUTE_PGM_RSRC2:TGID_X_EN: 1
; COMPUTE_PGM_RSRC2:TGID_Y_EN: 0
; COMPUTE_PGM_RSRC2:TGID_Z_EN: 0
; COMPUTE_PGM_RSRC2:TIDIG_COMP_CNT: 0
	.section	.text._Z6kernelI9broadcastaLj62ELj31ELj100EEvPKT0_PS1_S1_,"axG",@progbits,_Z6kernelI9broadcastaLj62ELj31ELj100EEvPKT0_PS1_S1_,comdat
	.protected	_Z6kernelI9broadcastaLj62ELj31ELj100EEvPKT0_PS1_S1_ ; -- Begin function _Z6kernelI9broadcastaLj62ELj31ELj100EEvPKT0_PS1_S1_
	.globl	_Z6kernelI9broadcastaLj62ELj31ELj100EEvPKT0_PS1_S1_
	.p2align	8
	.type	_Z6kernelI9broadcastaLj62ELj31ELj100EEvPKT0_PS1_S1_,@function
_Z6kernelI9broadcastaLj62ELj31ELj100EEvPKT0_PS1_S1_: ; @_Z6kernelI9broadcastaLj62ELj31ELj100EEvPKT0_PS1_S1_
; %bb.0:
	s_load_dword s7, s[4:5], 0x24
	s_load_dwordx4 s[0:3], s[4:5], 0x0
	v_mbcnt_lo_u32_b32 v2, -1, 0
	v_mbcnt_hi_u32_b32 v2, -1, v2
	s_waitcnt lgkmcnt(0)
	s_and_b32 s4, s7, 0xffff
	s_mul_i32 s6, s6, s4
	v_add_u32_e32 v0, s6, v0
	global_load_ubyte v1, v0, s[0:1]
	s_mov_b32 s0, 0xbdef7bdf
	v_mul_lo_u32 v3, v2, s0
	s_mov_b32 s0, 0x8421085
	v_mov_b32_e32 v2, 0
	s_movk_i32 s4, 0x64
	v_cmp_gt_u32_e32 vcc, s0, v3
	s_branch .LBB122_2
.LBB122_1:                              ;   in Loop: Header=BB122_2 Depth=1
	s_or_b64 exec, exec, s[0:1]
	; wave barrier
	s_waitcnt vmcnt(0) lgkmcnt(0)
	ds_read_u8 v1, v2
	s_add_i32 s4, s4, -1
	s_cmp_lg_u32 s4, 0
	s_cbranch_scc0 .LBB122_4
.LBB122_2:                              ; =>This Inner Loop Header: Depth=1
	s_and_saveexec_b64 s[0:1], vcc
	s_cbranch_execz .LBB122_1
; %bb.3:                                ;   in Loop: Header=BB122_2 Depth=1
	s_waitcnt vmcnt(0) lgkmcnt(0)
	ds_write_b8 v2, v1
	s_branch .LBB122_1
.LBB122_4:
	v_mov_b32_e32 v3, s3
	v_add_co_u32_e32 v2, vcc, s2, v0
	v_addc_co_u32_e32 v3, vcc, 0, v3, vcc
	s_waitcnt lgkmcnt(0)
	global_store_byte v[2:3], v1, off
	s_endpgm
	.section	.rodata,"a",@progbits
	.p2align	6, 0x0
	.amdhsa_kernel _Z6kernelI9broadcastaLj62ELj31ELj100EEvPKT0_PS1_S1_
		.amdhsa_group_segment_fixed_size 31
		.amdhsa_private_segment_fixed_size 0
		.amdhsa_kernarg_size 280
		.amdhsa_user_sgpr_count 6
		.amdhsa_user_sgpr_private_segment_buffer 1
		.amdhsa_user_sgpr_dispatch_ptr 0
		.amdhsa_user_sgpr_queue_ptr 0
		.amdhsa_user_sgpr_kernarg_segment_ptr 1
		.amdhsa_user_sgpr_dispatch_id 0
		.amdhsa_user_sgpr_flat_scratch_init 0
		.amdhsa_user_sgpr_private_segment_size 0
		.amdhsa_uses_dynamic_stack 0
		.amdhsa_system_sgpr_private_segment_wavefront_offset 0
		.amdhsa_system_sgpr_workgroup_id_x 1
		.amdhsa_system_sgpr_workgroup_id_y 0
		.amdhsa_system_sgpr_workgroup_id_z 0
		.amdhsa_system_sgpr_workgroup_info 0
		.amdhsa_system_vgpr_workitem_id 0
		.amdhsa_next_free_vgpr 4
		.amdhsa_next_free_sgpr 8
		.amdhsa_reserve_vcc 1
		.amdhsa_reserve_flat_scratch 0
		.amdhsa_float_round_mode_32 0
		.amdhsa_float_round_mode_16_64 0
		.amdhsa_float_denorm_mode_32 3
		.amdhsa_float_denorm_mode_16_64 3
		.amdhsa_dx10_clamp 1
		.amdhsa_ieee_mode 1
		.amdhsa_fp16_overflow 0
		.amdhsa_exception_fp_ieee_invalid_op 0
		.amdhsa_exception_fp_denorm_src 0
		.amdhsa_exception_fp_ieee_div_zero 0
		.amdhsa_exception_fp_ieee_overflow 0
		.amdhsa_exception_fp_ieee_underflow 0
		.amdhsa_exception_fp_ieee_inexact 0
		.amdhsa_exception_int_div_zero 0
	.end_amdhsa_kernel
	.section	.text._Z6kernelI9broadcastaLj62ELj31ELj100EEvPKT0_PS1_S1_,"axG",@progbits,_Z6kernelI9broadcastaLj62ELj31ELj100EEvPKT0_PS1_S1_,comdat
.Lfunc_end122:
	.size	_Z6kernelI9broadcastaLj62ELj31ELj100EEvPKT0_PS1_S1_, .Lfunc_end122-_Z6kernelI9broadcastaLj62ELj31ELj100EEvPKT0_PS1_S1_
                                        ; -- End function
	.set _Z6kernelI9broadcastaLj62ELj31ELj100EEvPKT0_PS1_S1_.num_vgpr, 4
	.set _Z6kernelI9broadcastaLj62ELj31ELj100EEvPKT0_PS1_S1_.num_agpr, 0
	.set _Z6kernelI9broadcastaLj62ELj31ELj100EEvPKT0_PS1_S1_.numbered_sgpr, 8
	.set _Z6kernelI9broadcastaLj62ELj31ELj100EEvPKT0_PS1_S1_.num_named_barrier, 0
	.set _Z6kernelI9broadcastaLj62ELj31ELj100EEvPKT0_PS1_S1_.private_seg_size, 0
	.set _Z6kernelI9broadcastaLj62ELj31ELj100EEvPKT0_PS1_S1_.uses_vcc, 1
	.set _Z6kernelI9broadcastaLj62ELj31ELj100EEvPKT0_PS1_S1_.uses_flat_scratch, 0
	.set _Z6kernelI9broadcastaLj62ELj31ELj100EEvPKT0_PS1_S1_.has_dyn_sized_stack, 0
	.set _Z6kernelI9broadcastaLj62ELj31ELj100EEvPKT0_PS1_S1_.has_recursion, 0
	.set _Z6kernelI9broadcastaLj62ELj31ELj100EEvPKT0_PS1_S1_.has_indirect_call, 0
	.section	.AMDGPU.csdata,"",@progbits
; Kernel info:
; codeLenInByte = 180
; TotalNumSgprs: 12
; NumVgprs: 4
; ScratchSize: 0
; MemoryBound: 0
; FloatMode: 240
; IeeeMode: 1
; LDSByteSize: 31 bytes/workgroup (compile time only)
; SGPRBlocks: 1
; VGPRBlocks: 0
; NumSGPRsForWavesPerEU: 12
; NumVGPRsForWavesPerEU: 4
; Occupancy: 10
; WaveLimiterHint : 0
; COMPUTE_PGM_RSRC2:SCRATCH_EN: 0
; COMPUTE_PGM_RSRC2:USER_SGPR: 6
; COMPUTE_PGM_RSRC2:TRAP_HANDLER: 0
; COMPUTE_PGM_RSRC2:TGID_X_EN: 1
; COMPUTE_PGM_RSRC2:TGID_Y_EN: 0
; COMPUTE_PGM_RSRC2:TGID_Z_EN: 0
; COMPUTE_PGM_RSRC2:TIDIG_COMP_CNT: 0
	.section	.text._Z6kernelI9broadcastaLj256ELj32ELj100EEvPKT0_PS1_S1_,"axG",@progbits,_Z6kernelI9broadcastaLj256ELj32ELj100EEvPKT0_PS1_S1_,comdat
	.protected	_Z6kernelI9broadcastaLj256ELj32ELj100EEvPKT0_PS1_S1_ ; -- Begin function _Z6kernelI9broadcastaLj256ELj32ELj100EEvPKT0_PS1_S1_
	.globl	_Z6kernelI9broadcastaLj256ELj32ELj100EEvPKT0_PS1_S1_
	.p2align	8
	.type	_Z6kernelI9broadcastaLj256ELj32ELj100EEvPKT0_PS1_S1_,@function
_Z6kernelI9broadcastaLj256ELj32ELj100EEvPKT0_PS1_S1_: ; @_Z6kernelI9broadcastaLj256ELj32ELj100EEvPKT0_PS1_S1_
; %bb.0:
	s_load_dword s7, s[4:5], 0x24
	s_load_dwordx4 s[0:3], s[4:5], 0x0
	v_mbcnt_lo_u32_b32 v2, -1, 0
	v_mbcnt_hi_u32_b32 v2, -1, v2
	v_lshlrev_b32_e32 v2, 2, v2
	s_waitcnt lgkmcnt(0)
	s_and_b32 s4, s7, 0xffff
	s_mul_i32 s6, s6, s4
	v_add_u32_e32 v1, s6, v0
	global_load_ubyte v0, v1, s[0:1]
	v_and_b32_e32 v2, 0x180, v2
	s_movk_i32 s0, 0x64
.LBB123_1:                              ; =>This Inner Loop Header: Depth=1
	s_waitcnt vmcnt(0) lgkmcnt(0)
	v_and_b32_e32 v0, 0xff, v0
	ds_bpermute_b32 v0, v2, v0
	s_add_i32 s0, s0, -1
	s_cmp_lg_u32 s0, 0
	s_cbranch_scc1 .LBB123_1
; %bb.2:
	v_mov_b32_e32 v2, s3
	v_add_co_u32_e32 v1, vcc, s2, v1
	v_addc_co_u32_e32 v2, vcc, 0, v2, vcc
	s_waitcnt lgkmcnt(0)
	global_store_byte v[1:2], v0, off
	s_endpgm
	.section	.rodata,"a",@progbits
	.p2align	6, 0x0
	.amdhsa_kernel _Z6kernelI9broadcastaLj256ELj32ELj100EEvPKT0_PS1_S1_
		.amdhsa_group_segment_fixed_size 0
		.amdhsa_private_segment_fixed_size 0
		.amdhsa_kernarg_size 280
		.amdhsa_user_sgpr_count 6
		.amdhsa_user_sgpr_private_segment_buffer 1
		.amdhsa_user_sgpr_dispatch_ptr 0
		.amdhsa_user_sgpr_queue_ptr 0
		.amdhsa_user_sgpr_kernarg_segment_ptr 1
		.amdhsa_user_sgpr_dispatch_id 0
		.amdhsa_user_sgpr_flat_scratch_init 0
		.amdhsa_user_sgpr_private_segment_size 0
		.amdhsa_uses_dynamic_stack 0
		.amdhsa_system_sgpr_private_segment_wavefront_offset 0
		.amdhsa_system_sgpr_workgroup_id_x 1
		.amdhsa_system_sgpr_workgroup_id_y 0
		.amdhsa_system_sgpr_workgroup_id_z 0
		.amdhsa_system_sgpr_workgroup_info 0
		.amdhsa_system_vgpr_workitem_id 0
		.amdhsa_next_free_vgpr 3
		.amdhsa_next_free_sgpr 8
		.amdhsa_reserve_vcc 1
		.amdhsa_reserve_flat_scratch 0
		.amdhsa_float_round_mode_32 0
		.amdhsa_float_round_mode_16_64 0
		.amdhsa_float_denorm_mode_32 3
		.amdhsa_float_denorm_mode_16_64 3
		.amdhsa_dx10_clamp 1
		.amdhsa_ieee_mode 1
		.amdhsa_fp16_overflow 0
		.amdhsa_exception_fp_ieee_invalid_op 0
		.amdhsa_exception_fp_denorm_src 0
		.amdhsa_exception_fp_ieee_div_zero 0
		.amdhsa_exception_fp_ieee_overflow 0
		.amdhsa_exception_fp_ieee_underflow 0
		.amdhsa_exception_fp_ieee_inexact 0
		.amdhsa_exception_int_div_zero 0
	.end_amdhsa_kernel
	.section	.text._Z6kernelI9broadcastaLj256ELj32ELj100EEvPKT0_PS1_S1_,"axG",@progbits,_Z6kernelI9broadcastaLj256ELj32ELj100EEvPKT0_PS1_S1_,comdat
.Lfunc_end123:
	.size	_Z6kernelI9broadcastaLj256ELj32ELj100EEvPKT0_PS1_S1_, .Lfunc_end123-_Z6kernelI9broadcastaLj256ELj32ELj100EEvPKT0_PS1_S1_
                                        ; -- End function
	.set _Z6kernelI9broadcastaLj256ELj32ELj100EEvPKT0_PS1_S1_.num_vgpr, 3
	.set _Z6kernelI9broadcastaLj256ELj32ELj100EEvPKT0_PS1_S1_.num_agpr, 0
	.set _Z6kernelI9broadcastaLj256ELj32ELj100EEvPKT0_PS1_S1_.numbered_sgpr, 8
	.set _Z6kernelI9broadcastaLj256ELj32ELj100EEvPKT0_PS1_S1_.num_named_barrier, 0
	.set _Z6kernelI9broadcastaLj256ELj32ELj100EEvPKT0_PS1_S1_.private_seg_size, 0
	.set _Z6kernelI9broadcastaLj256ELj32ELj100EEvPKT0_PS1_S1_.uses_vcc, 1
	.set _Z6kernelI9broadcastaLj256ELj32ELj100EEvPKT0_PS1_S1_.uses_flat_scratch, 0
	.set _Z6kernelI9broadcastaLj256ELj32ELj100EEvPKT0_PS1_S1_.has_dyn_sized_stack, 0
	.set _Z6kernelI9broadcastaLj256ELj32ELj100EEvPKT0_PS1_S1_.has_recursion, 0
	.set _Z6kernelI9broadcastaLj256ELj32ELj100EEvPKT0_PS1_S1_.has_indirect_call, 0
	.section	.AMDGPU.csdata,"",@progbits
; Kernel info:
; codeLenInByte = 136
; TotalNumSgprs: 12
; NumVgprs: 3
; ScratchSize: 0
; MemoryBound: 0
; FloatMode: 240
; IeeeMode: 1
; LDSByteSize: 0 bytes/workgroup (compile time only)
; SGPRBlocks: 1
; VGPRBlocks: 0
; NumSGPRsForWavesPerEU: 12
; NumVGPRsForWavesPerEU: 3
; Occupancy: 10
; WaveLimiterHint : 0
; COMPUTE_PGM_RSRC2:SCRATCH_EN: 0
; COMPUTE_PGM_RSRC2:USER_SGPR: 6
; COMPUTE_PGM_RSRC2:TRAP_HANDLER: 0
; COMPUTE_PGM_RSRC2:TGID_X_EN: 1
; COMPUTE_PGM_RSRC2:TGID_Y_EN: 0
; COMPUTE_PGM_RSRC2:TGID_Z_EN: 0
; COMPUTE_PGM_RSRC2:TIDIG_COMP_CNT: 0
	.section	.text._Z6kernelI9broadcastaLj63ELj63ELj100EEvPKT0_PS1_S1_,"axG",@progbits,_Z6kernelI9broadcastaLj63ELj63ELj100EEvPKT0_PS1_S1_,comdat
	.protected	_Z6kernelI9broadcastaLj63ELj63ELj100EEvPKT0_PS1_S1_ ; -- Begin function _Z6kernelI9broadcastaLj63ELj63ELj100EEvPKT0_PS1_S1_
	.globl	_Z6kernelI9broadcastaLj63ELj63ELj100EEvPKT0_PS1_S1_
	.p2align	8
	.type	_Z6kernelI9broadcastaLj63ELj63ELj100EEvPKT0_PS1_S1_,@function
_Z6kernelI9broadcastaLj63ELj63ELj100EEvPKT0_PS1_S1_: ; @_Z6kernelI9broadcastaLj63ELj63ELj100EEvPKT0_PS1_S1_
; %bb.0:
	s_load_dword s7, s[4:5], 0x24
	s_load_dwordx4 s[0:3], s[4:5], 0x0
	v_mbcnt_lo_u32_b32 v2, -1, 0
	v_mbcnt_hi_u32_b32 v2, -1, v2
	s_waitcnt lgkmcnt(0)
	s_and_b32 s4, s7, 0xffff
	s_mul_i32 s6, s6, s4
	v_add_u32_e32 v0, s6, v0
	global_load_ubyte v1, v0, s[0:1]
	s_mov_b32 s0, 0xbefbefbf
	v_mul_lo_u32 v3, v2, s0
	s_mov_b32 s0, 0x4104105
	v_mov_b32_e32 v2, 0
	s_movk_i32 s4, 0x64
	v_cmp_gt_u32_e32 vcc, s0, v3
	s_branch .LBB124_2
.LBB124_1:                              ;   in Loop: Header=BB124_2 Depth=1
	s_or_b64 exec, exec, s[0:1]
	; wave barrier
	s_waitcnt vmcnt(0) lgkmcnt(0)
	ds_read_u8 v1, v2
	s_add_i32 s4, s4, -1
	s_cmp_lg_u32 s4, 0
	s_cbranch_scc0 .LBB124_4
.LBB124_2:                              ; =>This Inner Loop Header: Depth=1
	s_and_saveexec_b64 s[0:1], vcc
	s_cbranch_execz .LBB124_1
; %bb.3:                                ;   in Loop: Header=BB124_2 Depth=1
	s_waitcnt vmcnt(0) lgkmcnt(0)
	ds_write_b8 v2, v1
	s_branch .LBB124_1
.LBB124_4:
	v_mov_b32_e32 v3, s3
	v_add_co_u32_e32 v2, vcc, s2, v0
	v_addc_co_u32_e32 v3, vcc, 0, v3, vcc
	s_waitcnt lgkmcnt(0)
	global_store_byte v[2:3], v1, off
	s_endpgm
	.section	.rodata,"a",@progbits
	.p2align	6, 0x0
	.amdhsa_kernel _Z6kernelI9broadcastaLj63ELj63ELj100EEvPKT0_PS1_S1_
		.amdhsa_group_segment_fixed_size 63
		.amdhsa_private_segment_fixed_size 0
		.amdhsa_kernarg_size 280
		.amdhsa_user_sgpr_count 6
		.amdhsa_user_sgpr_private_segment_buffer 1
		.amdhsa_user_sgpr_dispatch_ptr 0
		.amdhsa_user_sgpr_queue_ptr 0
		.amdhsa_user_sgpr_kernarg_segment_ptr 1
		.amdhsa_user_sgpr_dispatch_id 0
		.amdhsa_user_sgpr_flat_scratch_init 0
		.amdhsa_user_sgpr_private_segment_size 0
		.amdhsa_uses_dynamic_stack 0
		.amdhsa_system_sgpr_private_segment_wavefront_offset 0
		.amdhsa_system_sgpr_workgroup_id_x 1
		.amdhsa_system_sgpr_workgroup_id_y 0
		.amdhsa_system_sgpr_workgroup_id_z 0
		.amdhsa_system_sgpr_workgroup_info 0
		.amdhsa_system_vgpr_workitem_id 0
		.amdhsa_next_free_vgpr 4
		.amdhsa_next_free_sgpr 8
		.amdhsa_reserve_vcc 1
		.amdhsa_reserve_flat_scratch 0
		.amdhsa_float_round_mode_32 0
		.amdhsa_float_round_mode_16_64 0
		.amdhsa_float_denorm_mode_32 3
		.amdhsa_float_denorm_mode_16_64 3
		.amdhsa_dx10_clamp 1
		.amdhsa_ieee_mode 1
		.amdhsa_fp16_overflow 0
		.amdhsa_exception_fp_ieee_invalid_op 0
		.amdhsa_exception_fp_denorm_src 0
		.amdhsa_exception_fp_ieee_div_zero 0
		.amdhsa_exception_fp_ieee_overflow 0
		.amdhsa_exception_fp_ieee_underflow 0
		.amdhsa_exception_fp_ieee_inexact 0
		.amdhsa_exception_int_div_zero 0
	.end_amdhsa_kernel
	.section	.text._Z6kernelI9broadcastaLj63ELj63ELj100EEvPKT0_PS1_S1_,"axG",@progbits,_Z6kernelI9broadcastaLj63ELj63ELj100EEvPKT0_PS1_S1_,comdat
.Lfunc_end124:
	.size	_Z6kernelI9broadcastaLj63ELj63ELj100EEvPKT0_PS1_S1_, .Lfunc_end124-_Z6kernelI9broadcastaLj63ELj63ELj100EEvPKT0_PS1_S1_
                                        ; -- End function
	.set _Z6kernelI9broadcastaLj63ELj63ELj100EEvPKT0_PS1_S1_.num_vgpr, 4
	.set _Z6kernelI9broadcastaLj63ELj63ELj100EEvPKT0_PS1_S1_.num_agpr, 0
	.set _Z6kernelI9broadcastaLj63ELj63ELj100EEvPKT0_PS1_S1_.numbered_sgpr, 8
	.set _Z6kernelI9broadcastaLj63ELj63ELj100EEvPKT0_PS1_S1_.num_named_barrier, 0
	.set _Z6kernelI9broadcastaLj63ELj63ELj100EEvPKT0_PS1_S1_.private_seg_size, 0
	.set _Z6kernelI9broadcastaLj63ELj63ELj100EEvPKT0_PS1_S1_.uses_vcc, 1
	.set _Z6kernelI9broadcastaLj63ELj63ELj100EEvPKT0_PS1_S1_.uses_flat_scratch, 0
	.set _Z6kernelI9broadcastaLj63ELj63ELj100EEvPKT0_PS1_S1_.has_dyn_sized_stack, 0
	.set _Z6kernelI9broadcastaLj63ELj63ELj100EEvPKT0_PS1_S1_.has_recursion, 0
	.set _Z6kernelI9broadcastaLj63ELj63ELj100EEvPKT0_PS1_S1_.has_indirect_call, 0
	.section	.AMDGPU.csdata,"",@progbits
; Kernel info:
; codeLenInByte = 180
; TotalNumSgprs: 12
; NumVgprs: 4
; ScratchSize: 0
; MemoryBound: 0
; FloatMode: 240
; IeeeMode: 1
; LDSByteSize: 63 bytes/workgroup (compile time only)
; SGPRBlocks: 1
; VGPRBlocks: 0
; NumSGPRsForWavesPerEU: 12
; NumVGPRsForWavesPerEU: 4
; Occupancy: 10
; WaveLimiterHint : 0
; COMPUTE_PGM_RSRC2:SCRATCH_EN: 0
; COMPUTE_PGM_RSRC2:USER_SGPR: 6
; COMPUTE_PGM_RSRC2:TRAP_HANDLER: 0
; COMPUTE_PGM_RSRC2:TGID_X_EN: 1
; COMPUTE_PGM_RSRC2:TGID_Y_EN: 0
; COMPUTE_PGM_RSRC2:TGID_Z_EN: 0
; COMPUTE_PGM_RSRC2:TIDIG_COMP_CNT: 0
	.section	.text._Z6kernelI9broadcastaLj64ELj64ELj100EEvPKT0_PS1_S1_,"axG",@progbits,_Z6kernelI9broadcastaLj64ELj64ELj100EEvPKT0_PS1_S1_,comdat
	.protected	_Z6kernelI9broadcastaLj64ELj64ELj100EEvPKT0_PS1_S1_ ; -- Begin function _Z6kernelI9broadcastaLj64ELj64ELj100EEvPKT0_PS1_S1_
	.globl	_Z6kernelI9broadcastaLj64ELj64ELj100EEvPKT0_PS1_S1_
	.p2align	8
	.type	_Z6kernelI9broadcastaLj64ELj64ELj100EEvPKT0_PS1_S1_,@function
_Z6kernelI9broadcastaLj64ELj64ELj100EEvPKT0_PS1_S1_: ; @_Z6kernelI9broadcastaLj64ELj64ELj100EEvPKT0_PS1_S1_
; %bb.0:
	s_load_dword s7, s[4:5], 0x24
	s_load_dwordx4 s[0:3], s[4:5], 0x0
	v_mbcnt_lo_u32_b32 v2, -1, 0
	v_mbcnt_hi_u32_b32 v2, -1, v2
	v_lshlrev_b32_e32 v2, 2, v2
	s_waitcnt lgkmcnt(0)
	s_and_b32 s4, s7, 0xffff
	s_mul_i32 s6, s6, s4
	v_add_u32_e32 v1, s6, v0
	global_load_ubyte v0, v1, s[0:1]
	v_and_b32_e32 v2, 0x100, v2
	s_movk_i32 s0, 0x64
.LBB125_1:                              ; =>This Inner Loop Header: Depth=1
	s_waitcnt vmcnt(0) lgkmcnt(0)
	v_and_b32_e32 v0, 0xff, v0
	ds_bpermute_b32 v0, v2, v0
	s_add_i32 s0, s0, -1
	s_cmp_lg_u32 s0, 0
	s_cbranch_scc1 .LBB125_1
; %bb.2:
	v_mov_b32_e32 v2, s3
	v_add_co_u32_e32 v1, vcc, s2, v1
	v_addc_co_u32_e32 v2, vcc, 0, v2, vcc
	s_waitcnt lgkmcnt(0)
	global_store_byte v[1:2], v0, off
	s_endpgm
	.section	.rodata,"a",@progbits
	.p2align	6, 0x0
	.amdhsa_kernel _Z6kernelI9broadcastaLj64ELj64ELj100EEvPKT0_PS1_S1_
		.amdhsa_group_segment_fixed_size 0
		.amdhsa_private_segment_fixed_size 0
		.amdhsa_kernarg_size 280
		.amdhsa_user_sgpr_count 6
		.amdhsa_user_sgpr_private_segment_buffer 1
		.amdhsa_user_sgpr_dispatch_ptr 0
		.amdhsa_user_sgpr_queue_ptr 0
		.amdhsa_user_sgpr_kernarg_segment_ptr 1
		.amdhsa_user_sgpr_dispatch_id 0
		.amdhsa_user_sgpr_flat_scratch_init 0
		.amdhsa_user_sgpr_private_segment_size 0
		.amdhsa_uses_dynamic_stack 0
		.amdhsa_system_sgpr_private_segment_wavefront_offset 0
		.amdhsa_system_sgpr_workgroup_id_x 1
		.amdhsa_system_sgpr_workgroup_id_y 0
		.amdhsa_system_sgpr_workgroup_id_z 0
		.amdhsa_system_sgpr_workgroup_info 0
		.amdhsa_system_vgpr_workitem_id 0
		.amdhsa_next_free_vgpr 3
		.amdhsa_next_free_sgpr 8
		.amdhsa_reserve_vcc 1
		.amdhsa_reserve_flat_scratch 0
		.amdhsa_float_round_mode_32 0
		.amdhsa_float_round_mode_16_64 0
		.amdhsa_float_denorm_mode_32 3
		.amdhsa_float_denorm_mode_16_64 3
		.amdhsa_dx10_clamp 1
		.amdhsa_ieee_mode 1
		.amdhsa_fp16_overflow 0
		.amdhsa_exception_fp_ieee_invalid_op 0
		.amdhsa_exception_fp_denorm_src 0
		.amdhsa_exception_fp_ieee_div_zero 0
		.amdhsa_exception_fp_ieee_overflow 0
		.amdhsa_exception_fp_ieee_underflow 0
		.amdhsa_exception_fp_ieee_inexact 0
		.amdhsa_exception_int_div_zero 0
	.end_amdhsa_kernel
	.section	.text._Z6kernelI9broadcastaLj64ELj64ELj100EEvPKT0_PS1_S1_,"axG",@progbits,_Z6kernelI9broadcastaLj64ELj64ELj100EEvPKT0_PS1_S1_,comdat
.Lfunc_end125:
	.size	_Z6kernelI9broadcastaLj64ELj64ELj100EEvPKT0_PS1_S1_, .Lfunc_end125-_Z6kernelI9broadcastaLj64ELj64ELj100EEvPKT0_PS1_S1_
                                        ; -- End function
	.set _Z6kernelI9broadcastaLj64ELj64ELj100EEvPKT0_PS1_S1_.num_vgpr, 3
	.set _Z6kernelI9broadcastaLj64ELj64ELj100EEvPKT0_PS1_S1_.num_agpr, 0
	.set _Z6kernelI9broadcastaLj64ELj64ELj100EEvPKT0_PS1_S1_.numbered_sgpr, 8
	.set _Z6kernelI9broadcastaLj64ELj64ELj100EEvPKT0_PS1_S1_.num_named_barrier, 0
	.set _Z6kernelI9broadcastaLj64ELj64ELj100EEvPKT0_PS1_S1_.private_seg_size, 0
	.set _Z6kernelI9broadcastaLj64ELj64ELj100EEvPKT0_PS1_S1_.uses_vcc, 1
	.set _Z6kernelI9broadcastaLj64ELj64ELj100EEvPKT0_PS1_S1_.uses_flat_scratch, 0
	.set _Z6kernelI9broadcastaLj64ELj64ELj100EEvPKT0_PS1_S1_.has_dyn_sized_stack, 0
	.set _Z6kernelI9broadcastaLj64ELj64ELj100EEvPKT0_PS1_S1_.has_recursion, 0
	.set _Z6kernelI9broadcastaLj64ELj64ELj100EEvPKT0_PS1_S1_.has_indirect_call, 0
	.section	.AMDGPU.csdata,"",@progbits
; Kernel info:
; codeLenInByte = 136
; TotalNumSgprs: 12
; NumVgprs: 3
; ScratchSize: 0
; MemoryBound: 0
; FloatMode: 240
; IeeeMode: 1
; LDSByteSize: 0 bytes/workgroup (compile time only)
; SGPRBlocks: 1
; VGPRBlocks: 0
; NumSGPRsForWavesPerEU: 12
; NumVGPRsForWavesPerEU: 3
; Occupancy: 10
; WaveLimiterHint : 0
; COMPUTE_PGM_RSRC2:SCRATCH_EN: 0
; COMPUTE_PGM_RSRC2:USER_SGPR: 6
; COMPUTE_PGM_RSRC2:TRAP_HANDLER: 0
; COMPUTE_PGM_RSRC2:TGID_X_EN: 1
; COMPUTE_PGM_RSRC2:TGID_Y_EN: 0
; COMPUTE_PGM_RSRC2:TGID_Z_EN: 0
; COMPUTE_PGM_RSRC2:TIDIG_COMP_CNT: 0
	.section	.text._Z6kernelI9broadcastaLj128ELj64ELj100EEvPKT0_PS1_S1_,"axG",@progbits,_Z6kernelI9broadcastaLj128ELj64ELj100EEvPKT0_PS1_S1_,comdat
	.protected	_Z6kernelI9broadcastaLj128ELj64ELj100EEvPKT0_PS1_S1_ ; -- Begin function _Z6kernelI9broadcastaLj128ELj64ELj100EEvPKT0_PS1_S1_
	.globl	_Z6kernelI9broadcastaLj128ELj64ELj100EEvPKT0_PS1_S1_
	.p2align	8
	.type	_Z6kernelI9broadcastaLj128ELj64ELj100EEvPKT0_PS1_S1_,@function
_Z6kernelI9broadcastaLj128ELj64ELj100EEvPKT0_PS1_S1_: ; @_Z6kernelI9broadcastaLj128ELj64ELj100EEvPKT0_PS1_S1_
; %bb.0:
	s_load_dword s7, s[4:5], 0x24
	s_load_dwordx4 s[0:3], s[4:5], 0x0
	v_mbcnt_lo_u32_b32 v2, -1, 0
	v_mbcnt_hi_u32_b32 v2, -1, v2
	v_lshlrev_b32_e32 v2, 2, v2
	s_waitcnt lgkmcnt(0)
	s_and_b32 s4, s7, 0xffff
	s_mul_i32 s6, s6, s4
	v_add_u32_e32 v1, s6, v0
	global_load_ubyte v0, v1, s[0:1]
	v_and_b32_e32 v2, 0x100, v2
	s_movk_i32 s0, 0x64
.LBB126_1:                              ; =>This Inner Loop Header: Depth=1
	s_waitcnt vmcnt(0) lgkmcnt(0)
	v_and_b32_e32 v0, 0xff, v0
	ds_bpermute_b32 v0, v2, v0
	s_add_i32 s0, s0, -1
	s_cmp_lg_u32 s0, 0
	s_cbranch_scc1 .LBB126_1
; %bb.2:
	v_mov_b32_e32 v2, s3
	v_add_co_u32_e32 v1, vcc, s2, v1
	v_addc_co_u32_e32 v2, vcc, 0, v2, vcc
	s_waitcnt lgkmcnt(0)
	global_store_byte v[1:2], v0, off
	s_endpgm
	.section	.rodata,"a",@progbits
	.p2align	6, 0x0
	.amdhsa_kernel _Z6kernelI9broadcastaLj128ELj64ELj100EEvPKT0_PS1_S1_
		.amdhsa_group_segment_fixed_size 0
		.amdhsa_private_segment_fixed_size 0
		.amdhsa_kernarg_size 280
		.amdhsa_user_sgpr_count 6
		.amdhsa_user_sgpr_private_segment_buffer 1
		.amdhsa_user_sgpr_dispatch_ptr 0
		.amdhsa_user_sgpr_queue_ptr 0
		.amdhsa_user_sgpr_kernarg_segment_ptr 1
		.amdhsa_user_sgpr_dispatch_id 0
		.amdhsa_user_sgpr_flat_scratch_init 0
		.amdhsa_user_sgpr_private_segment_size 0
		.amdhsa_uses_dynamic_stack 0
		.amdhsa_system_sgpr_private_segment_wavefront_offset 0
		.amdhsa_system_sgpr_workgroup_id_x 1
		.amdhsa_system_sgpr_workgroup_id_y 0
		.amdhsa_system_sgpr_workgroup_id_z 0
		.amdhsa_system_sgpr_workgroup_info 0
		.amdhsa_system_vgpr_workitem_id 0
		.amdhsa_next_free_vgpr 3
		.amdhsa_next_free_sgpr 8
		.amdhsa_reserve_vcc 1
		.amdhsa_reserve_flat_scratch 0
		.amdhsa_float_round_mode_32 0
		.amdhsa_float_round_mode_16_64 0
		.amdhsa_float_denorm_mode_32 3
		.amdhsa_float_denorm_mode_16_64 3
		.amdhsa_dx10_clamp 1
		.amdhsa_ieee_mode 1
		.amdhsa_fp16_overflow 0
		.amdhsa_exception_fp_ieee_invalid_op 0
		.amdhsa_exception_fp_denorm_src 0
		.amdhsa_exception_fp_ieee_div_zero 0
		.amdhsa_exception_fp_ieee_overflow 0
		.amdhsa_exception_fp_ieee_underflow 0
		.amdhsa_exception_fp_ieee_inexact 0
		.amdhsa_exception_int_div_zero 0
	.end_amdhsa_kernel
	.section	.text._Z6kernelI9broadcastaLj128ELj64ELj100EEvPKT0_PS1_S1_,"axG",@progbits,_Z6kernelI9broadcastaLj128ELj64ELj100EEvPKT0_PS1_S1_,comdat
.Lfunc_end126:
	.size	_Z6kernelI9broadcastaLj128ELj64ELj100EEvPKT0_PS1_S1_, .Lfunc_end126-_Z6kernelI9broadcastaLj128ELj64ELj100EEvPKT0_PS1_S1_
                                        ; -- End function
	.set _Z6kernelI9broadcastaLj128ELj64ELj100EEvPKT0_PS1_S1_.num_vgpr, 3
	.set _Z6kernelI9broadcastaLj128ELj64ELj100EEvPKT0_PS1_S1_.num_agpr, 0
	.set _Z6kernelI9broadcastaLj128ELj64ELj100EEvPKT0_PS1_S1_.numbered_sgpr, 8
	.set _Z6kernelI9broadcastaLj128ELj64ELj100EEvPKT0_PS1_S1_.num_named_barrier, 0
	.set _Z6kernelI9broadcastaLj128ELj64ELj100EEvPKT0_PS1_S1_.private_seg_size, 0
	.set _Z6kernelI9broadcastaLj128ELj64ELj100EEvPKT0_PS1_S1_.uses_vcc, 1
	.set _Z6kernelI9broadcastaLj128ELj64ELj100EEvPKT0_PS1_S1_.uses_flat_scratch, 0
	.set _Z6kernelI9broadcastaLj128ELj64ELj100EEvPKT0_PS1_S1_.has_dyn_sized_stack, 0
	.set _Z6kernelI9broadcastaLj128ELj64ELj100EEvPKT0_PS1_S1_.has_recursion, 0
	.set _Z6kernelI9broadcastaLj128ELj64ELj100EEvPKT0_PS1_S1_.has_indirect_call, 0
	.section	.AMDGPU.csdata,"",@progbits
; Kernel info:
; codeLenInByte = 136
; TotalNumSgprs: 12
; NumVgprs: 3
; ScratchSize: 0
; MemoryBound: 0
; FloatMode: 240
; IeeeMode: 1
; LDSByteSize: 0 bytes/workgroup (compile time only)
; SGPRBlocks: 1
; VGPRBlocks: 0
; NumSGPRsForWavesPerEU: 12
; NumVGPRsForWavesPerEU: 3
; Occupancy: 10
; WaveLimiterHint : 0
; COMPUTE_PGM_RSRC2:SCRATCH_EN: 0
; COMPUTE_PGM_RSRC2:USER_SGPR: 6
; COMPUTE_PGM_RSRC2:TRAP_HANDLER: 0
; COMPUTE_PGM_RSRC2:TGID_X_EN: 1
; COMPUTE_PGM_RSRC2:TGID_Y_EN: 0
; COMPUTE_PGM_RSRC2:TGID_Z_EN: 0
; COMPUTE_PGM_RSRC2:TIDIG_COMP_CNT: 0
	.section	.text._Z6kernelI9broadcastaLj256ELj64ELj100EEvPKT0_PS1_S1_,"axG",@progbits,_Z6kernelI9broadcastaLj256ELj64ELj100EEvPKT0_PS1_S1_,comdat
	.protected	_Z6kernelI9broadcastaLj256ELj64ELj100EEvPKT0_PS1_S1_ ; -- Begin function _Z6kernelI9broadcastaLj256ELj64ELj100EEvPKT0_PS1_S1_
	.globl	_Z6kernelI9broadcastaLj256ELj64ELj100EEvPKT0_PS1_S1_
	.p2align	8
	.type	_Z6kernelI9broadcastaLj256ELj64ELj100EEvPKT0_PS1_S1_,@function
_Z6kernelI9broadcastaLj256ELj64ELj100EEvPKT0_PS1_S1_: ; @_Z6kernelI9broadcastaLj256ELj64ELj100EEvPKT0_PS1_S1_
; %bb.0:
	s_load_dword s7, s[4:5], 0x24
	s_load_dwordx4 s[0:3], s[4:5], 0x0
	v_mbcnt_lo_u32_b32 v2, -1, 0
	v_mbcnt_hi_u32_b32 v2, -1, v2
	v_lshlrev_b32_e32 v2, 2, v2
	s_waitcnt lgkmcnt(0)
	s_and_b32 s4, s7, 0xffff
	s_mul_i32 s6, s6, s4
	v_add_u32_e32 v1, s6, v0
	global_load_ubyte v0, v1, s[0:1]
	v_and_b32_e32 v2, 0x100, v2
	s_movk_i32 s0, 0x64
.LBB127_1:                              ; =>This Inner Loop Header: Depth=1
	s_waitcnt vmcnt(0) lgkmcnt(0)
	v_and_b32_e32 v0, 0xff, v0
	ds_bpermute_b32 v0, v2, v0
	s_add_i32 s0, s0, -1
	s_cmp_lg_u32 s0, 0
	s_cbranch_scc1 .LBB127_1
; %bb.2:
	v_mov_b32_e32 v2, s3
	v_add_co_u32_e32 v1, vcc, s2, v1
	v_addc_co_u32_e32 v2, vcc, 0, v2, vcc
	s_waitcnt lgkmcnt(0)
	global_store_byte v[1:2], v0, off
	s_endpgm
	.section	.rodata,"a",@progbits
	.p2align	6, 0x0
	.amdhsa_kernel _Z6kernelI9broadcastaLj256ELj64ELj100EEvPKT0_PS1_S1_
		.amdhsa_group_segment_fixed_size 0
		.amdhsa_private_segment_fixed_size 0
		.amdhsa_kernarg_size 280
		.amdhsa_user_sgpr_count 6
		.amdhsa_user_sgpr_private_segment_buffer 1
		.amdhsa_user_sgpr_dispatch_ptr 0
		.amdhsa_user_sgpr_queue_ptr 0
		.amdhsa_user_sgpr_kernarg_segment_ptr 1
		.amdhsa_user_sgpr_dispatch_id 0
		.amdhsa_user_sgpr_flat_scratch_init 0
		.amdhsa_user_sgpr_private_segment_size 0
		.amdhsa_uses_dynamic_stack 0
		.amdhsa_system_sgpr_private_segment_wavefront_offset 0
		.amdhsa_system_sgpr_workgroup_id_x 1
		.amdhsa_system_sgpr_workgroup_id_y 0
		.amdhsa_system_sgpr_workgroup_id_z 0
		.amdhsa_system_sgpr_workgroup_info 0
		.amdhsa_system_vgpr_workitem_id 0
		.amdhsa_next_free_vgpr 3
		.amdhsa_next_free_sgpr 8
		.amdhsa_reserve_vcc 1
		.amdhsa_reserve_flat_scratch 0
		.amdhsa_float_round_mode_32 0
		.amdhsa_float_round_mode_16_64 0
		.amdhsa_float_denorm_mode_32 3
		.amdhsa_float_denorm_mode_16_64 3
		.amdhsa_dx10_clamp 1
		.amdhsa_ieee_mode 1
		.amdhsa_fp16_overflow 0
		.amdhsa_exception_fp_ieee_invalid_op 0
		.amdhsa_exception_fp_denorm_src 0
		.amdhsa_exception_fp_ieee_div_zero 0
		.amdhsa_exception_fp_ieee_overflow 0
		.amdhsa_exception_fp_ieee_underflow 0
		.amdhsa_exception_fp_ieee_inexact 0
		.amdhsa_exception_int_div_zero 0
	.end_amdhsa_kernel
	.section	.text._Z6kernelI9broadcastaLj256ELj64ELj100EEvPKT0_PS1_S1_,"axG",@progbits,_Z6kernelI9broadcastaLj256ELj64ELj100EEvPKT0_PS1_S1_,comdat
.Lfunc_end127:
	.size	_Z6kernelI9broadcastaLj256ELj64ELj100EEvPKT0_PS1_S1_, .Lfunc_end127-_Z6kernelI9broadcastaLj256ELj64ELj100EEvPKT0_PS1_S1_
                                        ; -- End function
	.set _Z6kernelI9broadcastaLj256ELj64ELj100EEvPKT0_PS1_S1_.num_vgpr, 3
	.set _Z6kernelI9broadcastaLj256ELj64ELj100EEvPKT0_PS1_S1_.num_agpr, 0
	.set _Z6kernelI9broadcastaLj256ELj64ELj100EEvPKT0_PS1_S1_.numbered_sgpr, 8
	.set _Z6kernelI9broadcastaLj256ELj64ELj100EEvPKT0_PS1_S1_.num_named_barrier, 0
	.set _Z6kernelI9broadcastaLj256ELj64ELj100EEvPKT0_PS1_S1_.private_seg_size, 0
	.set _Z6kernelI9broadcastaLj256ELj64ELj100EEvPKT0_PS1_S1_.uses_vcc, 1
	.set _Z6kernelI9broadcastaLj256ELj64ELj100EEvPKT0_PS1_S1_.uses_flat_scratch, 0
	.set _Z6kernelI9broadcastaLj256ELj64ELj100EEvPKT0_PS1_S1_.has_dyn_sized_stack, 0
	.set _Z6kernelI9broadcastaLj256ELj64ELj100EEvPKT0_PS1_S1_.has_recursion, 0
	.set _Z6kernelI9broadcastaLj256ELj64ELj100EEvPKT0_PS1_S1_.has_indirect_call, 0
	.section	.AMDGPU.csdata,"",@progbits
; Kernel info:
; codeLenInByte = 136
; TotalNumSgprs: 12
; NumVgprs: 3
; ScratchSize: 0
; MemoryBound: 0
; FloatMode: 240
; IeeeMode: 1
; LDSByteSize: 0 bytes/workgroup (compile time only)
; SGPRBlocks: 1
; VGPRBlocks: 0
; NumSGPRsForWavesPerEU: 12
; NumVGPRsForWavesPerEU: 3
; Occupancy: 10
; WaveLimiterHint : 0
; COMPUTE_PGM_RSRC2:SCRATCH_EN: 0
; COMPUTE_PGM_RSRC2:USER_SGPR: 6
; COMPUTE_PGM_RSRC2:TRAP_HANDLER: 0
; COMPUTE_PGM_RSRC2:TGID_X_EN: 1
; COMPUTE_PGM_RSRC2:TGID_Y_EN: 0
; COMPUTE_PGM_RSRC2:TGID_Z_EN: 0
; COMPUTE_PGM_RSRC2:TIDIG_COMP_CNT: 0
	.section	.text._Z6kernelI9broadcastN15benchmark_utils11custom_typeIddEELj60ELj15ELj100EEvPKT0_PS4_S4_,"axG",@progbits,_Z6kernelI9broadcastN15benchmark_utils11custom_typeIddEELj60ELj15ELj100EEvPKT0_PS4_S4_,comdat
	.protected	_Z6kernelI9broadcastN15benchmark_utils11custom_typeIddEELj60ELj15ELj100EEvPKT0_PS4_S4_ ; -- Begin function _Z6kernelI9broadcastN15benchmark_utils11custom_typeIddEELj60ELj15ELj100EEvPKT0_PS4_S4_
	.globl	_Z6kernelI9broadcastN15benchmark_utils11custom_typeIddEELj60ELj15ELj100EEvPKT0_PS4_S4_
	.p2align	8
	.type	_Z6kernelI9broadcastN15benchmark_utils11custom_typeIddEELj60ELj15ELj100EEvPKT0_PS4_S4_,@function
_Z6kernelI9broadcastN15benchmark_utils11custom_typeIddEELj60ELj15ELj100EEvPKT0_PS4_S4_: ; @_Z6kernelI9broadcastN15benchmark_utils11custom_typeIddEELj60ELj15ELj100EEvPKT0_PS4_S4_
; %bb.0:
	s_load_dword s7, s[4:5], 0x2c
	s_load_dwordx4 s[0:3], s[4:5], 0x0
	v_mov_b32_e32 v4, 0
	v_mbcnt_lo_u32_b32 v7, -1, 0
	v_mbcnt_hi_u32_b32 v7, -1, v7
	s_waitcnt lgkmcnt(0)
	s_and_b32 s4, s7, 0xffff
	s_mul_i32 s6, s6, s4
	v_add_u32_e32 v3, s6, v0
	v_lshlrev_b64 v[5:6], 4, v[3:4]
	v_mov_b32_e32 v1, s1
	v_add_co_u32_e32 v0, vcc, s0, v5
	v_addc_co_u32_e32 v1, vcc, v1, v6, vcc
	global_load_dwordx4 v[0:3], v[0:1], off
	s_mov_b32 s0, 0xeeeeeeef
	v_mul_lo_u32 v7, v7, s0
	s_mov_b32 s0, 0x11111112
	s_movk_i32 s4, 0x64
	v_cmp_gt_u32_e32 vcc, s0, v7
	s_branch .LBB128_2
.LBB128_1:                              ;   in Loop: Header=BB128_2 Depth=1
	s_or_b64 exec, exec, s[0:1]
	; wave barrier
	s_waitcnt vmcnt(0) lgkmcnt(0)
	ds_read_b128 v[0:3], v4
	s_add_i32 s4, s4, -1
	s_cmp_lg_u32 s4, 0
	s_cbranch_scc0 .LBB128_4
.LBB128_2:                              ; =>This Inner Loop Header: Depth=1
	s_and_saveexec_b64 s[0:1], vcc
	s_cbranch_execz .LBB128_1
; %bb.3:                                ;   in Loop: Header=BB128_2 Depth=1
	s_waitcnt vmcnt(0) lgkmcnt(0)
	ds_write_b128 v4, v[0:3]
	s_branch .LBB128_1
.LBB128_4:
	v_mov_b32_e32 v7, s3
	v_add_co_u32_e32 v4, vcc, s2, v5
	v_addc_co_u32_e32 v5, vcc, v7, v6, vcc
	s_waitcnt lgkmcnt(0)
	global_store_dwordx4 v[4:5], v[0:3], off
	s_endpgm
	.section	.rodata,"a",@progbits
	.p2align	6, 0x0
	.amdhsa_kernel _Z6kernelI9broadcastN15benchmark_utils11custom_typeIddEELj60ELj15ELj100EEvPKT0_PS4_S4_
		.amdhsa_group_segment_fixed_size 240
		.amdhsa_private_segment_fixed_size 0
		.amdhsa_kernarg_size 288
		.amdhsa_user_sgpr_count 6
		.amdhsa_user_sgpr_private_segment_buffer 1
		.amdhsa_user_sgpr_dispatch_ptr 0
		.amdhsa_user_sgpr_queue_ptr 0
		.amdhsa_user_sgpr_kernarg_segment_ptr 1
		.amdhsa_user_sgpr_dispatch_id 0
		.amdhsa_user_sgpr_flat_scratch_init 0
		.amdhsa_user_sgpr_private_segment_size 0
		.amdhsa_uses_dynamic_stack 0
		.amdhsa_system_sgpr_private_segment_wavefront_offset 0
		.amdhsa_system_sgpr_workgroup_id_x 1
		.amdhsa_system_sgpr_workgroup_id_y 0
		.amdhsa_system_sgpr_workgroup_id_z 0
		.amdhsa_system_sgpr_workgroup_info 0
		.amdhsa_system_vgpr_workitem_id 0
		.amdhsa_next_free_vgpr 8
		.amdhsa_next_free_sgpr 8
		.amdhsa_reserve_vcc 1
		.amdhsa_reserve_flat_scratch 0
		.amdhsa_float_round_mode_32 0
		.amdhsa_float_round_mode_16_64 0
		.amdhsa_float_denorm_mode_32 3
		.amdhsa_float_denorm_mode_16_64 3
		.amdhsa_dx10_clamp 1
		.amdhsa_ieee_mode 1
		.amdhsa_fp16_overflow 0
		.amdhsa_exception_fp_ieee_invalid_op 0
		.amdhsa_exception_fp_denorm_src 0
		.amdhsa_exception_fp_ieee_div_zero 0
		.amdhsa_exception_fp_ieee_overflow 0
		.amdhsa_exception_fp_ieee_underflow 0
		.amdhsa_exception_fp_ieee_inexact 0
		.amdhsa_exception_int_div_zero 0
	.end_amdhsa_kernel
	.section	.text._Z6kernelI9broadcastN15benchmark_utils11custom_typeIddEELj60ELj15ELj100EEvPKT0_PS4_S4_,"axG",@progbits,_Z6kernelI9broadcastN15benchmark_utils11custom_typeIddEELj60ELj15ELj100EEvPKT0_PS4_S4_,comdat
.Lfunc_end128:
	.size	_Z6kernelI9broadcastN15benchmark_utils11custom_typeIddEELj60ELj15ELj100EEvPKT0_PS4_S4_, .Lfunc_end128-_Z6kernelI9broadcastN15benchmark_utils11custom_typeIddEELj60ELj15ELj100EEvPKT0_PS4_S4_
                                        ; -- End function
	.set _Z6kernelI9broadcastN15benchmark_utils11custom_typeIddEELj60ELj15ELj100EEvPKT0_PS4_S4_.num_vgpr, 8
	.set _Z6kernelI9broadcastN15benchmark_utils11custom_typeIddEELj60ELj15ELj100EEvPKT0_PS4_S4_.num_agpr, 0
	.set _Z6kernelI9broadcastN15benchmark_utils11custom_typeIddEELj60ELj15ELj100EEvPKT0_PS4_S4_.numbered_sgpr, 8
	.set _Z6kernelI9broadcastN15benchmark_utils11custom_typeIddEELj60ELj15ELj100EEvPKT0_PS4_S4_.num_named_barrier, 0
	.set _Z6kernelI9broadcastN15benchmark_utils11custom_typeIddEELj60ELj15ELj100EEvPKT0_PS4_S4_.private_seg_size, 0
	.set _Z6kernelI9broadcastN15benchmark_utils11custom_typeIddEELj60ELj15ELj100EEvPKT0_PS4_S4_.uses_vcc, 1
	.set _Z6kernelI9broadcastN15benchmark_utils11custom_typeIddEELj60ELj15ELj100EEvPKT0_PS4_S4_.uses_flat_scratch, 0
	.set _Z6kernelI9broadcastN15benchmark_utils11custom_typeIddEELj60ELj15ELj100EEvPKT0_PS4_S4_.has_dyn_sized_stack, 0
	.set _Z6kernelI9broadcastN15benchmark_utils11custom_typeIddEELj60ELj15ELj100EEvPKT0_PS4_S4_.has_recursion, 0
	.set _Z6kernelI9broadcastN15benchmark_utils11custom_typeIddEELj60ELj15ELj100EEvPKT0_PS4_S4_.has_indirect_call, 0
	.section	.AMDGPU.csdata,"",@progbits
; Kernel info:
; codeLenInByte = 200
; TotalNumSgprs: 12
; NumVgprs: 8
; ScratchSize: 0
; MemoryBound: 0
; FloatMode: 240
; IeeeMode: 1
; LDSByteSize: 240 bytes/workgroup (compile time only)
; SGPRBlocks: 1
; VGPRBlocks: 1
; NumSGPRsForWavesPerEU: 12
; NumVGPRsForWavesPerEU: 8
; Occupancy: 10
; WaveLimiterHint : 0
; COMPUTE_PGM_RSRC2:SCRATCH_EN: 0
; COMPUTE_PGM_RSRC2:USER_SGPR: 6
; COMPUTE_PGM_RSRC2:TRAP_HANDLER: 0
; COMPUTE_PGM_RSRC2:TGID_X_EN: 1
; COMPUTE_PGM_RSRC2:TGID_Y_EN: 0
; COMPUTE_PGM_RSRC2:TGID_Z_EN: 0
; COMPUTE_PGM_RSRC2:TIDIG_COMP_CNT: 0
	.section	.text._Z6kernelI9broadcastN15benchmark_utils11custom_typeIddEELj256ELj16ELj100EEvPKT0_PS4_S4_,"axG",@progbits,_Z6kernelI9broadcastN15benchmark_utils11custom_typeIddEELj256ELj16ELj100EEvPKT0_PS4_S4_,comdat
	.protected	_Z6kernelI9broadcastN15benchmark_utils11custom_typeIddEELj256ELj16ELj100EEvPKT0_PS4_S4_ ; -- Begin function _Z6kernelI9broadcastN15benchmark_utils11custom_typeIddEELj256ELj16ELj100EEvPKT0_PS4_S4_
	.globl	_Z6kernelI9broadcastN15benchmark_utils11custom_typeIddEELj256ELj16ELj100EEvPKT0_PS4_S4_
	.p2align	8
	.type	_Z6kernelI9broadcastN15benchmark_utils11custom_typeIddEELj256ELj16ELj100EEvPKT0_PS4_S4_,@function
_Z6kernelI9broadcastN15benchmark_utils11custom_typeIddEELj256ELj16ELj100EEvPKT0_PS4_S4_: ; @_Z6kernelI9broadcastN15benchmark_utils11custom_typeIddEELj256ELj16ELj100EEvPKT0_PS4_S4_
; %bb.0:
	s_load_dword s7, s[4:5], 0x2c
	s_load_dwordx4 s[0:3], s[4:5], 0x0
	v_mov_b32_e32 v1, 0
	v_mbcnt_lo_u32_b32 v6, -1, 0
	v_mbcnt_hi_u32_b32 v6, -1, v6
	s_waitcnt lgkmcnt(0)
	s_and_b32 s4, s7, 0xffff
	s_mul_i32 s6, s6, s4
	v_add_u32_e32 v0, s6, v0
	v_lshlrev_b64 v[4:5], 4, v[0:1]
	v_mov_b32_e32 v1, s1
	v_add_co_u32_e32 v0, vcc, s0, v4
	v_addc_co_u32_e32 v1, vcc, v1, v5, vcc
	global_load_dwordx4 v[0:3], v[0:1], off
	v_lshlrev_b32_e32 v6, 2, v6
	v_and_b32_e32 v6, 0x1c0, v6
	s_movk_i32 s0, 0x64
.LBB129_1:                              ; =>This Inner Loop Header: Depth=1
	s_waitcnt vmcnt(0) lgkmcnt(3)
	ds_bpermute_b32 v0, v6, v0
	s_waitcnt lgkmcnt(3)
	ds_bpermute_b32 v1, v6, v1
	s_waitcnt lgkmcnt(3)
	;; [unrolled: 2-line block ×3, first 2 shown]
	ds_bpermute_b32 v3, v6, v3
	s_add_i32 s0, s0, -1
	s_cmp_lg_u32 s0, 0
	s_cbranch_scc1 .LBB129_1
; %bb.2:
	v_mov_b32_e32 v6, s3
	v_add_co_u32_e32 v4, vcc, s2, v4
	v_addc_co_u32_e32 v5, vcc, v6, v5, vcc
	s_waitcnt lgkmcnt(0)
	global_store_dwordx4 v[4:5], v[0:3], off
	s_endpgm
	.section	.rodata,"a",@progbits
	.p2align	6, 0x0
	.amdhsa_kernel _Z6kernelI9broadcastN15benchmark_utils11custom_typeIddEELj256ELj16ELj100EEvPKT0_PS4_S4_
		.amdhsa_group_segment_fixed_size 0
		.amdhsa_private_segment_fixed_size 0
		.amdhsa_kernarg_size 288
		.amdhsa_user_sgpr_count 6
		.amdhsa_user_sgpr_private_segment_buffer 1
		.amdhsa_user_sgpr_dispatch_ptr 0
		.amdhsa_user_sgpr_queue_ptr 0
		.amdhsa_user_sgpr_kernarg_segment_ptr 1
		.amdhsa_user_sgpr_dispatch_id 0
		.amdhsa_user_sgpr_flat_scratch_init 0
		.amdhsa_user_sgpr_private_segment_size 0
		.amdhsa_uses_dynamic_stack 0
		.amdhsa_system_sgpr_private_segment_wavefront_offset 0
		.amdhsa_system_sgpr_workgroup_id_x 1
		.amdhsa_system_sgpr_workgroup_id_y 0
		.amdhsa_system_sgpr_workgroup_id_z 0
		.amdhsa_system_sgpr_workgroup_info 0
		.amdhsa_system_vgpr_workitem_id 0
		.amdhsa_next_free_vgpr 7
		.amdhsa_next_free_sgpr 8
		.amdhsa_reserve_vcc 1
		.amdhsa_reserve_flat_scratch 0
		.amdhsa_float_round_mode_32 0
		.amdhsa_float_round_mode_16_64 0
		.amdhsa_float_denorm_mode_32 3
		.amdhsa_float_denorm_mode_16_64 3
		.amdhsa_dx10_clamp 1
		.amdhsa_ieee_mode 1
		.amdhsa_fp16_overflow 0
		.amdhsa_exception_fp_ieee_invalid_op 0
		.amdhsa_exception_fp_denorm_src 0
		.amdhsa_exception_fp_ieee_div_zero 0
		.amdhsa_exception_fp_ieee_overflow 0
		.amdhsa_exception_fp_ieee_underflow 0
		.amdhsa_exception_fp_ieee_inexact 0
		.amdhsa_exception_int_div_zero 0
	.end_amdhsa_kernel
	.section	.text._Z6kernelI9broadcastN15benchmark_utils11custom_typeIddEELj256ELj16ELj100EEvPKT0_PS4_S4_,"axG",@progbits,_Z6kernelI9broadcastN15benchmark_utils11custom_typeIddEELj256ELj16ELj100EEvPKT0_PS4_S4_,comdat
.Lfunc_end129:
	.size	_Z6kernelI9broadcastN15benchmark_utils11custom_typeIddEELj256ELj16ELj100EEvPKT0_PS4_S4_, .Lfunc_end129-_Z6kernelI9broadcastN15benchmark_utils11custom_typeIddEELj256ELj16ELj100EEvPKT0_PS4_S4_
                                        ; -- End function
	.set _Z6kernelI9broadcastN15benchmark_utils11custom_typeIddEELj256ELj16ELj100EEvPKT0_PS4_S4_.num_vgpr, 7
	.set _Z6kernelI9broadcastN15benchmark_utils11custom_typeIddEELj256ELj16ELj100EEvPKT0_PS4_S4_.num_agpr, 0
	.set _Z6kernelI9broadcastN15benchmark_utils11custom_typeIddEELj256ELj16ELj100EEvPKT0_PS4_S4_.numbered_sgpr, 8
	.set _Z6kernelI9broadcastN15benchmark_utils11custom_typeIddEELj256ELj16ELj100EEvPKT0_PS4_S4_.num_named_barrier, 0
	.set _Z6kernelI9broadcastN15benchmark_utils11custom_typeIddEELj256ELj16ELj100EEvPKT0_PS4_S4_.private_seg_size, 0
	.set _Z6kernelI9broadcastN15benchmark_utils11custom_typeIddEELj256ELj16ELj100EEvPKT0_PS4_S4_.uses_vcc, 1
	.set _Z6kernelI9broadcastN15benchmark_utils11custom_typeIddEELj256ELj16ELj100EEvPKT0_PS4_S4_.uses_flat_scratch, 0
	.set _Z6kernelI9broadcastN15benchmark_utils11custom_typeIddEELj256ELj16ELj100EEvPKT0_PS4_S4_.has_dyn_sized_stack, 0
	.set _Z6kernelI9broadcastN15benchmark_utils11custom_typeIddEELj256ELj16ELj100EEvPKT0_PS4_S4_.has_recursion, 0
	.set _Z6kernelI9broadcastN15benchmark_utils11custom_typeIddEELj256ELj16ELj100EEvPKT0_PS4_S4_.has_indirect_call, 0
	.section	.AMDGPU.csdata,"",@progbits
; Kernel info:
; codeLenInByte = 188
; TotalNumSgprs: 12
; NumVgprs: 7
; ScratchSize: 0
; MemoryBound: 0
; FloatMode: 240
; IeeeMode: 1
; LDSByteSize: 0 bytes/workgroup (compile time only)
; SGPRBlocks: 1
; VGPRBlocks: 1
; NumSGPRsForWavesPerEU: 12
; NumVGPRsForWavesPerEU: 7
; Occupancy: 10
; WaveLimiterHint : 0
; COMPUTE_PGM_RSRC2:SCRATCH_EN: 0
; COMPUTE_PGM_RSRC2:USER_SGPR: 6
; COMPUTE_PGM_RSRC2:TRAP_HANDLER: 0
; COMPUTE_PGM_RSRC2:TGID_X_EN: 1
; COMPUTE_PGM_RSRC2:TGID_Y_EN: 0
; COMPUTE_PGM_RSRC2:TGID_Z_EN: 0
; COMPUTE_PGM_RSRC2:TIDIG_COMP_CNT: 0
	.section	.text._Z6kernelI9broadcastN15benchmark_utils11custom_typeIddEELj62ELj31ELj100EEvPKT0_PS4_S4_,"axG",@progbits,_Z6kernelI9broadcastN15benchmark_utils11custom_typeIddEELj62ELj31ELj100EEvPKT0_PS4_S4_,comdat
	.protected	_Z6kernelI9broadcastN15benchmark_utils11custom_typeIddEELj62ELj31ELj100EEvPKT0_PS4_S4_ ; -- Begin function _Z6kernelI9broadcastN15benchmark_utils11custom_typeIddEELj62ELj31ELj100EEvPKT0_PS4_S4_
	.globl	_Z6kernelI9broadcastN15benchmark_utils11custom_typeIddEELj62ELj31ELj100EEvPKT0_PS4_S4_
	.p2align	8
	.type	_Z6kernelI9broadcastN15benchmark_utils11custom_typeIddEELj62ELj31ELj100EEvPKT0_PS4_S4_,@function
_Z6kernelI9broadcastN15benchmark_utils11custom_typeIddEELj62ELj31ELj100EEvPKT0_PS4_S4_: ; @_Z6kernelI9broadcastN15benchmark_utils11custom_typeIddEELj62ELj31ELj100EEvPKT0_PS4_S4_
; %bb.0:
	s_load_dword s7, s[4:5], 0x2c
	s_load_dwordx4 s[0:3], s[4:5], 0x0
	v_mov_b32_e32 v4, 0
	v_mbcnt_lo_u32_b32 v7, -1, 0
	v_mbcnt_hi_u32_b32 v7, -1, v7
	s_waitcnt lgkmcnt(0)
	s_and_b32 s4, s7, 0xffff
	s_mul_i32 s6, s6, s4
	v_add_u32_e32 v3, s6, v0
	v_lshlrev_b64 v[5:6], 4, v[3:4]
	v_mov_b32_e32 v1, s1
	v_add_co_u32_e32 v0, vcc, s0, v5
	v_addc_co_u32_e32 v1, vcc, v1, v6, vcc
	global_load_dwordx4 v[0:3], v[0:1], off
	s_mov_b32 s0, 0xbdef7bdf
	v_mul_lo_u32 v7, v7, s0
	s_mov_b32 s0, 0x8421085
	s_movk_i32 s4, 0x64
	v_cmp_gt_u32_e32 vcc, s0, v7
	s_branch .LBB130_2
.LBB130_1:                              ;   in Loop: Header=BB130_2 Depth=1
	s_or_b64 exec, exec, s[0:1]
	; wave barrier
	s_waitcnt vmcnt(0) lgkmcnt(0)
	ds_read_b128 v[0:3], v4
	s_add_i32 s4, s4, -1
	s_cmp_lg_u32 s4, 0
	s_cbranch_scc0 .LBB130_4
.LBB130_2:                              ; =>This Inner Loop Header: Depth=1
	s_and_saveexec_b64 s[0:1], vcc
	s_cbranch_execz .LBB130_1
; %bb.3:                                ;   in Loop: Header=BB130_2 Depth=1
	s_waitcnt vmcnt(0) lgkmcnt(0)
	ds_write_b128 v4, v[0:3]
	s_branch .LBB130_1
.LBB130_4:
	v_mov_b32_e32 v7, s3
	v_add_co_u32_e32 v4, vcc, s2, v5
	v_addc_co_u32_e32 v5, vcc, v7, v6, vcc
	s_waitcnt lgkmcnt(0)
	global_store_dwordx4 v[4:5], v[0:3], off
	s_endpgm
	.section	.rodata,"a",@progbits
	.p2align	6, 0x0
	.amdhsa_kernel _Z6kernelI9broadcastN15benchmark_utils11custom_typeIddEELj62ELj31ELj100EEvPKT0_PS4_S4_
		.amdhsa_group_segment_fixed_size 496
		.amdhsa_private_segment_fixed_size 0
		.amdhsa_kernarg_size 288
		.amdhsa_user_sgpr_count 6
		.amdhsa_user_sgpr_private_segment_buffer 1
		.amdhsa_user_sgpr_dispatch_ptr 0
		.amdhsa_user_sgpr_queue_ptr 0
		.amdhsa_user_sgpr_kernarg_segment_ptr 1
		.amdhsa_user_sgpr_dispatch_id 0
		.amdhsa_user_sgpr_flat_scratch_init 0
		.amdhsa_user_sgpr_private_segment_size 0
		.amdhsa_uses_dynamic_stack 0
		.amdhsa_system_sgpr_private_segment_wavefront_offset 0
		.amdhsa_system_sgpr_workgroup_id_x 1
		.amdhsa_system_sgpr_workgroup_id_y 0
		.amdhsa_system_sgpr_workgroup_id_z 0
		.amdhsa_system_sgpr_workgroup_info 0
		.amdhsa_system_vgpr_workitem_id 0
		.amdhsa_next_free_vgpr 8
		.amdhsa_next_free_sgpr 8
		.amdhsa_reserve_vcc 1
		.amdhsa_reserve_flat_scratch 0
		.amdhsa_float_round_mode_32 0
		.amdhsa_float_round_mode_16_64 0
		.amdhsa_float_denorm_mode_32 3
		.amdhsa_float_denorm_mode_16_64 3
		.amdhsa_dx10_clamp 1
		.amdhsa_ieee_mode 1
		.amdhsa_fp16_overflow 0
		.amdhsa_exception_fp_ieee_invalid_op 0
		.amdhsa_exception_fp_denorm_src 0
		.amdhsa_exception_fp_ieee_div_zero 0
		.amdhsa_exception_fp_ieee_overflow 0
		.amdhsa_exception_fp_ieee_underflow 0
		.amdhsa_exception_fp_ieee_inexact 0
		.amdhsa_exception_int_div_zero 0
	.end_amdhsa_kernel
	.section	.text._Z6kernelI9broadcastN15benchmark_utils11custom_typeIddEELj62ELj31ELj100EEvPKT0_PS4_S4_,"axG",@progbits,_Z6kernelI9broadcastN15benchmark_utils11custom_typeIddEELj62ELj31ELj100EEvPKT0_PS4_S4_,comdat
.Lfunc_end130:
	.size	_Z6kernelI9broadcastN15benchmark_utils11custom_typeIddEELj62ELj31ELj100EEvPKT0_PS4_S4_, .Lfunc_end130-_Z6kernelI9broadcastN15benchmark_utils11custom_typeIddEELj62ELj31ELj100EEvPKT0_PS4_S4_
                                        ; -- End function
	.set _Z6kernelI9broadcastN15benchmark_utils11custom_typeIddEELj62ELj31ELj100EEvPKT0_PS4_S4_.num_vgpr, 8
	.set _Z6kernelI9broadcastN15benchmark_utils11custom_typeIddEELj62ELj31ELj100EEvPKT0_PS4_S4_.num_agpr, 0
	.set _Z6kernelI9broadcastN15benchmark_utils11custom_typeIddEELj62ELj31ELj100EEvPKT0_PS4_S4_.numbered_sgpr, 8
	.set _Z6kernelI9broadcastN15benchmark_utils11custom_typeIddEELj62ELj31ELj100EEvPKT0_PS4_S4_.num_named_barrier, 0
	.set _Z6kernelI9broadcastN15benchmark_utils11custom_typeIddEELj62ELj31ELj100EEvPKT0_PS4_S4_.private_seg_size, 0
	.set _Z6kernelI9broadcastN15benchmark_utils11custom_typeIddEELj62ELj31ELj100EEvPKT0_PS4_S4_.uses_vcc, 1
	.set _Z6kernelI9broadcastN15benchmark_utils11custom_typeIddEELj62ELj31ELj100EEvPKT0_PS4_S4_.uses_flat_scratch, 0
	.set _Z6kernelI9broadcastN15benchmark_utils11custom_typeIddEELj62ELj31ELj100EEvPKT0_PS4_S4_.has_dyn_sized_stack, 0
	.set _Z6kernelI9broadcastN15benchmark_utils11custom_typeIddEELj62ELj31ELj100EEvPKT0_PS4_S4_.has_recursion, 0
	.set _Z6kernelI9broadcastN15benchmark_utils11custom_typeIddEELj62ELj31ELj100EEvPKT0_PS4_S4_.has_indirect_call, 0
	.section	.AMDGPU.csdata,"",@progbits
; Kernel info:
; codeLenInByte = 200
; TotalNumSgprs: 12
; NumVgprs: 8
; ScratchSize: 0
; MemoryBound: 0
; FloatMode: 240
; IeeeMode: 1
; LDSByteSize: 496 bytes/workgroup (compile time only)
; SGPRBlocks: 1
; VGPRBlocks: 1
; NumSGPRsForWavesPerEU: 12
; NumVGPRsForWavesPerEU: 8
; Occupancy: 10
; WaveLimiterHint : 0
; COMPUTE_PGM_RSRC2:SCRATCH_EN: 0
; COMPUTE_PGM_RSRC2:USER_SGPR: 6
; COMPUTE_PGM_RSRC2:TRAP_HANDLER: 0
; COMPUTE_PGM_RSRC2:TGID_X_EN: 1
; COMPUTE_PGM_RSRC2:TGID_Y_EN: 0
; COMPUTE_PGM_RSRC2:TGID_Z_EN: 0
; COMPUTE_PGM_RSRC2:TIDIG_COMP_CNT: 0
	.section	.text._Z6kernelI9broadcastN15benchmark_utils11custom_typeIddEELj256ELj32ELj100EEvPKT0_PS4_S4_,"axG",@progbits,_Z6kernelI9broadcastN15benchmark_utils11custom_typeIddEELj256ELj32ELj100EEvPKT0_PS4_S4_,comdat
	.protected	_Z6kernelI9broadcastN15benchmark_utils11custom_typeIddEELj256ELj32ELj100EEvPKT0_PS4_S4_ ; -- Begin function _Z6kernelI9broadcastN15benchmark_utils11custom_typeIddEELj256ELj32ELj100EEvPKT0_PS4_S4_
	.globl	_Z6kernelI9broadcastN15benchmark_utils11custom_typeIddEELj256ELj32ELj100EEvPKT0_PS4_S4_
	.p2align	8
	.type	_Z6kernelI9broadcastN15benchmark_utils11custom_typeIddEELj256ELj32ELj100EEvPKT0_PS4_S4_,@function
_Z6kernelI9broadcastN15benchmark_utils11custom_typeIddEELj256ELj32ELj100EEvPKT0_PS4_S4_: ; @_Z6kernelI9broadcastN15benchmark_utils11custom_typeIddEELj256ELj32ELj100EEvPKT0_PS4_S4_
; %bb.0:
	s_load_dword s7, s[4:5], 0x2c
	s_load_dwordx4 s[0:3], s[4:5], 0x0
	v_mov_b32_e32 v1, 0
	v_mbcnt_lo_u32_b32 v6, -1, 0
	v_mbcnt_hi_u32_b32 v6, -1, v6
	s_waitcnt lgkmcnt(0)
	s_and_b32 s4, s7, 0xffff
	s_mul_i32 s6, s6, s4
	v_add_u32_e32 v0, s6, v0
	v_lshlrev_b64 v[4:5], 4, v[0:1]
	v_mov_b32_e32 v1, s1
	v_add_co_u32_e32 v0, vcc, s0, v4
	v_addc_co_u32_e32 v1, vcc, v1, v5, vcc
	global_load_dwordx4 v[0:3], v[0:1], off
	v_lshlrev_b32_e32 v6, 2, v6
	v_and_b32_e32 v6, 0x180, v6
	s_movk_i32 s0, 0x64
.LBB131_1:                              ; =>This Inner Loop Header: Depth=1
	s_waitcnt vmcnt(0) lgkmcnt(3)
	ds_bpermute_b32 v0, v6, v0
	s_waitcnt lgkmcnt(3)
	ds_bpermute_b32 v1, v6, v1
	s_waitcnt lgkmcnt(3)
	;; [unrolled: 2-line block ×3, first 2 shown]
	ds_bpermute_b32 v3, v6, v3
	s_add_i32 s0, s0, -1
	s_cmp_lg_u32 s0, 0
	s_cbranch_scc1 .LBB131_1
; %bb.2:
	v_mov_b32_e32 v6, s3
	v_add_co_u32_e32 v4, vcc, s2, v4
	v_addc_co_u32_e32 v5, vcc, v6, v5, vcc
	s_waitcnt lgkmcnt(0)
	global_store_dwordx4 v[4:5], v[0:3], off
	s_endpgm
	.section	.rodata,"a",@progbits
	.p2align	6, 0x0
	.amdhsa_kernel _Z6kernelI9broadcastN15benchmark_utils11custom_typeIddEELj256ELj32ELj100EEvPKT0_PS4_S4_
		.amdhsa_group_segment_fixed_size 0
		.amdhsa_private_segment_fixed_size 0
		.amdhsa_kernarg_size 288
		.amdhsa_user_sgpr_count 6
		.amdhsa_user_sgpr_private_segment_buffer 1
		.amdhsa_user_sgpr_dispatch_ptr 0
		.amdhsa_user_sgpr_queue_ptr 0
		.amdhsa_user_sgpr_kernarg_segment_ptr 1
		.amdhsa_user_sgpr_dispatch_id 0
		.amdhsa_user_sgpr_flat_scratch_init 0
		.amdhsa_user_sgpr_private_segment_size 0
		.amdhsa_uses_dynamic_stack 0
		.amdhsa_system_sgpr_private_segment_wavefront_offset 0
		.amdhsa_system_sgpr_workgroup_id_x 1
		.amdhsa_system_sgpr_workgroup_id_y 0
		.amdhsa_system_sgpr_workgroup_id_z 0
		.amdhsa_system_sgpr_workgroup_info 0
		.amdhsa_system_vgpr_workitem_id 0
		.amdhsa_next_free_vgpr 7
		.amdhsa_next_free_sgpr 8
		.amdhsa_reserve_vcc 1
		.amdhsa_reserve_flat_scratch 0
		.amdhsa_float_round_mode_32 0
		.amdhsa_float_round_mode_16_64 0
		.amdhsa_float_denorm_mode_32 3
		.amdhsa_float_denorm_mode_16_64 3
		.amdhsa_dx10_clamp 1
		.amdhsa_ieee_mode 1
		.amdhsa_fp16_overflow 0
		.amdhsa_exception_fp_ieee_invalid_op 0
		.amdhsa_exception_fp_denorm_src 0
		.amdhsa_exception_fp_ieee_div_zero 0
		.amdhsa_exception_fp_ieee_overflow 0
		.amdhsa_exception_fp_ieee_underflow 0
		.amdhsa_exception_fp_ieee_inexact 0
		.amdhsa_exception_int_div_zero 0
	.end_amdhsa_kernel
	.section	.text._Z6kernelI9broadcastN15benchmark_utils11custom_typeIddEELj256ELj32ELj100EEvPKT0_PS4_S4_,"axG",@progbits,_Z6kernelI9broadcastN15benchmark_utils11custom_typeIddEELj256ELj32ELj100EEvPKT0_PS4_S4_,comdat
.Lfunc_end131:
	.size	_Z6kernelI9broadcastN15benchmark_utils11custom_typeIddEELj256ELj32ELj100EEvPKT0_PS4_S4_, .Lfunc_end131-_Z6kernelI9broadcastN15benchmark_utils11custom_typeIddEELj256ELj32ELj100EEvPKT0_PS4_S4_
                                        ; -- End function
	.set _Z6kernelI9broadcastN15benchmark_utils11custom_typeIddEELj256ELj32ELj100EEvPKT0_PS4_S4_.num_vgpr, 7
	.set _Z6kernelI9broadcastN15benchmark_utils11custom_typeIddEELj256ELj32ELj100EEvPKT0_PS4_S4_.num_agpr, 0
	.set _Z6kernelI9broadcastN15benchmark_utils11custom_typeIddEELj256ELj32ELj100EEvPKT0_PS4_S4_.numbered_sgpr, 8
	.set _Z6kernelI9broadcastN15benchmark_utils11custom_typeIddEELj256ELj32ELj100EEvPKT0_PS4_S4_.num_named_barrier, 0
	.set _Z6kernelI9broadcastN15benchmark_utils11custom_typeIddEELj256ELj32ELj100EEvPKT0_PS4_S4_.private_seg_size, 0
	.set _Z6kernelI9broadcastN15benchmark_utils11custom_typeIddEELj256ELj32ELj100EEvPKT0_PS4_S4_.uses_vcc, 1
	.set _Z6kernelI9broadcastN15benchmark_utils11custom_typeIddEELj256ELj32ELj100EEvPKT0_PS4_S4_.uses_flat_scratch, 0
	.set _Z6kernelI9broadcastN15benchmark_utils11custom_typeIddEELj256ELj32ELj100EEvPKT0_PS4_S4_.has_dyn_sized_stack, 0
	.set _Z6kernelI9broadcastN15benchmark_utils11custom_typeIddEELj256ELj32ELj100EEvPKT0_PS4_S4_.has_recursion, 0
	.set _Z6kernelI9broadcastN15benchmark_utils11custom_typeIddEELj256ELj32ELj100EEvPKT0_PS4_S4_.has_indirect_call, 0
	.section	.AMDGPU.csdata,"",@progbits
; Kernel info:
; codeLenInByte = 188
; TotalNumSgprs: 12
; NumVgprs: 7
; ScratchSize: 0
; MemoryBound: 0
; FloatMode: 240
; IeeeMode: 1
; LDSByteSize: 0 bytes/workgroup (compile time only)
; SGPRBlocks: 1
; VGPRBlocks: 1
; NumSGPRsForWavesPerEU: 12
; NumVGPRsForWavesPerEU: 7
; Occupancy: 10
; WaveLimiterHint : 0
; COMPUTE_PGM_RSRC2:SCRATCH_EN: 0
; COMPUTE_PGM_RSRC2:USER_SGPR: 6
; COMPUTE_PGM_RSRC2:TRAP_HANDLER: 0
; COMPUTE_PGM_RSRC2:TGID_X_EN: 1
; COMPUTE_PGM_RSRC2:TGID_Y_EN: 0
; COMPUTE_PGM_RSRC2:TGID_Z_EN: 0
; COMPUTE_PGM_RSRC2:TIDIG_COMP_CNT: 0
	.section	.text._Z6kernelI9broadcastN15benchmark_utils11custom_typeIddEELj63ELj63ELj100EEvPKT0_PS4_S4_,"axG",@progbits,_Z6kernelI9broadcastN15benchmark_utils11custom_typeIddEELj63ELj63ELj100EEvPKT0_PS4_S4_,comdat
	.protected	_Z6kernelI9broadcastN15benchmark_utils11custom_typeIddEELj63ELj63ELj100EEvPKT0_PS4_S4_ ; -- Begin function _Z6kernelI9broadcastN15benchmark_utils11custom_typeIddEELj63ELj63ELj100EEvPKT0_PS4_S4_
	.globl	_Z6kernelI9broadcastN15benchmark_utils11custom_typeIddEELj63ELj63ELj100EEvPKT0_PS4_S4_
	.p2align	8
	.type	_Z6kernelI9broadcastN15benchmark_utils11custom_typeIddEELj63ELj63ELj100EEvPKT0_PS4_S4_,@function
_Z6kernelI9broadcastN15benchmark_utils11custom_typeIddEELj63ELj63ELj100EEvPKT0_PS4_S4_: ; @_Z6kernelI9broadcastN15benchmark_utils11custom_typeIddEELj63ELj63ELj100EEvPKT0_PS4_S4_
; %bb.0:
	s_load_dword s7, s[4:5], 0x2c
	s_load_dwordx4 s[0:3], s[4:5], 0x0
	v_mov_b32_e32 v4, 0
	v_mbcnt_lo_u32_b32 v7, -1, 0
	v_mbcnt_hi_u32_b32 v7, -1, v7
	s_waitcnt lgkmcnt(0)
	s_and_b32 s4, s7, 0xffff
	s_mul_i32 s6, s6, s4
	v_add_u32_e32 v3, s6, v0
	v_lshlrev_b64 v[5:6], 4, v[3:4]
	v_mov_b32_e32 v1, s1
	v_add_co_u32_e32 v0, vcc, s0, v5
	v_addc_co_u32_e32 v1, vcc, v1, v6, vcc
	global_load_dwordx4 v[0:3], v[0:1], off
	s_mov_b32 s0, 0xbefbefbf
	v_mul_lo_u32 v7, v7, s0
	s_mov_b32 s0, 0x4104105
	s_movk_i32 s4, 0x64
	v_cmp_gt_u32_e32 vcc, s0, v7
	s_branch .LBB132_2
.LBB132_1:                              ;   in Loop: Header=BB132_2 Depth=1
	s_or_b64 exec, exec, s[0:1]
	; wave barrier
	s_waitcnt vmcnt(0) lgkmcnt(0)
	ds_read_b128 v[0:3], v4
	s_add_i32 s4, s4, -1
	s_cmp_lg_u32 s4, 0
	s_cbranch_scc0 .LBB132_4
.LBB132_2:                              ; =>This Inner Loop Header: Depth=1
	s_and_saveexec_b64 s[0:1], vcc
	s_cbranch_execz .LBB132_1
; %bb.3:                                ;   in Loop: Header=BB132_2 Depth=1
	s_waitcnt vmcnt(0) lgkmcnt(0)
	ds_write_b128 v4, v[0:3]
	s_branch .LBB132_1
.LBB132_4:
	v_mov_b32_e32 v7, s3
	v_add_co_u32_e32 v4, vcc, s2, v5
	v_addc_co_u32_e32 v5, vcc, v7, v6, vcc
	s_waitcnt lgkmcnt(0)
	global_store_dwordx4 v[4:5], v[0:3], off
	s_endpgm
	.section	.rodata,"a",@progbits
	.p2align	6, 0x0
	.amdhsa_kernel _Z6kernelI9broadcastN15benchmark_utils11custom_typeIddEELj63ELj63ELj100EEvPKT0_PS4_S4_
		.amdhsa_group_segment_fixed_size 1008
		.amdhsa_private_segment_fixed_size 0
		.amdhsa_kernarg_size 288
		.amdhsa_user_sgpr_count 6
		.amdhsa_user_sgpr_private_segment_buffer 1
		.amdhsa_user_sgpr_dispatch_ptr 0
		.amdhsa_user_sgpr_queue_ptr 0
		.amdhsa_user_sgpr_kernarg_segment_ptr 1
		.amdhsa_user_sgpr_dispatch_id 0
		.amdhsa_user_sgpr_flat_scratch_init 0
		.amdhsa_user_sgpr_private_segment_size 0
		.amdhsa_uses_dynamic_stack 0
		.amdhsa_system_sgpr_private_segment_wavefront_offset 0
		.amdhsa_system_sgpr_workgroup_id_x 1
		.amdhsa_system_sgpr_workgroup_id_y 0
		.amdhsa_system_sgpr_workgroup_id_z 0
		.amdhsa_system_sgpr_workgroup_info 0
		.amdhsa_system_vgpr_workitem_id 0
		.amdhsa_next_free_vgpr 8
		.amdhsa_next_free_sgpr 8
		.amdhsa_reserve_vcc 1
		.amdhsa_reserve_flat_scratch 0
		.amdhsa_float_round_mode_32 0
		.amdhsa_float_round_mode_16_64 0
		.amdhsa_float_denorm_mode_32 3
		.amdhsa_float_denorm_mode_16_64 3
		.amdhsa_dx10_clamp 1
		.amdhsa_ieee_mode 1
		.amdhsa_fp16_overflow 0
		.amdhsa_exception_fp_ieee_invalid_op 0
		.amdhsa_exception_fp_denorm_src 0
		.amdhsa_exception_fp_ieee_div_zero 0
		.amdhsa_exception_fp_ieee_overflow 0
		.amdhsa_exception_fp_ieee_underflow 0
		.amdhsa_exception_fp_ieee_inexact 0
		.amdhsa_exception_int_div_zero 0
	.end_amdhsa_kernel
	.section	.text._Z6kernelI9broadcastN15benchmark_utils11custom_typeIddEELj63ELj63ELj100EEvPKT0_PS4_S4_,"axG",@progbits,_Z6kernelI9broadcastN15benchmark_utils11custom_typeIddEELj63ELj63ELj100EEvPKT0_PS4_S4_,comdat
.Lfunc_end132:
	.size	_Z6kernelI9broadcastN15benchmark_utils11custom_typeIddEELj63ELj63ELj100EEvPKT0_PS4_S4_, .Lfunc_end132-_Z6kernelI9broadcastN15benchmark_utils11custom_typeIddEELj63ELj63ELj100EEvPKT0_PS4_S4_
                                        ; -- End function
	.set _Z6kernelI9broadcastN15benchmark_utils11custom_typeIddEELj63ELj63ELj100EEvPKT0_PS4_S4_.num_vgpr, 8
	.set _Z6kernelI9broadcastN15benchmark_utils11custom_typeIddEELj63ELj63ELj100EEvPKT0_PS4_S4_.num_agpr, 0
	.set _Z6kernelI9broadcastN15benchmark_utils11custom_typeIddEELj63ELj63ELj100EEvPKT0_PS4_S4_.numbered_sgpr, 8
	.set _Z6kernelI9broadcastN15benchmark_utils11custom_typeIddEELj63ELj63ELj100EEvPKT0_PS4_S4_.num_named_barrier, 0
	.set _Z6kernelI9broadcastN15benchmark_utils11custom_typeIddEELj63ELj63ELj100EEvPKT0_PS4_S4_.private_seg_size, 0
	.set _Z6kernelI9broadcastN15benchmark_utils11custom_typeIddEELj63ELj63ELj100EEvPKT0_PS4_S4_.uses_vcc, 1
	.set _Z6kernelI9broadcastN15benchmark_utils11custom_typeIddEELj63ELj63ELj100EEvPKT0_PS4_S4_.uses_flat_scratch, 0
	.set _Z6kernelI9broadcastN15benchmark_utils11custom_typeIddEELj63ELj63ELj100EEvPKT0_PS4_S4_.has_dyn_sized_stack, 0
	.set _Z6kernelI9broadcastN15benchmark_utils11custom_typeIddEELj63ELj63ELj100EEvPKT0_PS4_S4_.has_recursion, 0
	.set _Z6kernelI9broadcastN15benchmark_utils11custom_typeIddEELj63ELj63ELj100EEvPKT0_PS4_S4_.has_indirect_call, 0
	.section	.AMDGPU.csdata,"",@progbits
; Kernel info:
; codeLenInByte = 200
; TotalNumSgprs: 12
; NumVgprs: 8
; ScratchSize: 0
; MemoryBound: 0
; FloatMode: 240
; IeeeMode: 1
; LDSByteSize: 1008 bytes/workgroup (compile time only)
; SGPRBlocks: 1
; VGPRBlocks: 1
; NumSGPRsForWavesPerEU: 12
; NumVGPRsForWavesPerEU: 8
; Occupancy: 10
; WaveLimiterHint : 0
; COMPUTE_PGM_RSRC2:SCRATCH_EN: 0
; COMPUTE_PGM_RSRC2:USER_SGPR: 6
; COMPUTE_PGM_RSRC2:TRAP_HANDLER: 0
; COMPUTE_PGM_RSRC2:TGID_X_EN: 1
; COMPUTE_PGM_RSRC2:TGID_Y_EN: 0
; COMPUTE_PGM_RSRC2:TGID_Z_EN: 0
; COMPUTE_PGM_RSRC2:TIDIG_COMP_CNT: 0
	.section	.text._Z6kernelI9broadcastN15benchmark_utils11custom_typeIddEELj64ELj64ELj100EEvPKT0_PS4_S4_,"axG",@progbits,_Z6kernelI9broadcastN15benchmark_utils11custom_typeIddEELj64ELj64ELj100EEvPKT0_PS4_S4_,comdat
	.protected	_Z6kernelI9broadcastN15benchmark_utils11custom_typeIddEELj64ELj64ELj100EEvPKT0_PS4_S4_ ; -- Begin function _Z6kernelI9broadcastN15benchmark_utils11custom_typeIddEELj64ELj64ELj100EEvPKT0_PS4_S4_
	.globl	_Z6kernelI9broadcastN15benchmark_utils11custom_typeIddEELj64ELj64ELj100EEvPKT0_PS4_S4_
	.p2align	8
	.type	_Z6kernelI9broadcastN15benchmark_utils11custom_typeIddEELj64ELj64ELj100EEvPKT0_PS4_S4_,@function
_Z6kernelI9broadcastN15benchmark_utils11custom_typeIddEELj64ELj64ELj100EEvPKT0_PS4_S4_: ; @_Z6kernelI9broadcastN15benchmark_utils11custom_typeIddEELj64ELj64ELj100EEvPKT0_PS4_S4_
; %bb.0:
	s_load_dword s7, s[4:5], 0x2c
	s_load_dwordx4 s[0:3], s[4:5], 0x0
	v_mov_b32_e32 v1, 0
	v_mbcnt_lo_u32_b32 v6, -1, 0
	v_mbcnt_hi_u32_b32 v6, -1, v6
	s_waitcnt lgkmcnt(0)
	s_and_b32 s4, s7, 0xffff
	s_mul_i32 s6, s6, s4
	v_add_u32_e32 v0, s6, v0
	v_lshlrev_b64 v[4:5], 4, v[0:1]
	v_mov_b32_e32 v1, s1
	v_add_co_u32_e32 v0, vcc, s0, v4
	v_addc_co_u32_e32 v1, vcc, v1, v5, vcc
	global_load_dwordx4 v[0:3], v[0:1], off
	v_lshlrev_b32_e32 v6, 2, v6
	v_and_b32_e32 v6, 0x100, v6
	s_movk_i32 s0, 0x64
.LBB133_1:                              ; =>This Inner Loop Header: Depth=1
	s_waitcnt vmcnt(0) lgkmcnt(3)
	ds_bpermute_b32 v0, v6, v0
	s_waitcnt lgkmcnt(3)
	ds_bpermute_b32 v1, v6, v1
	s_waitcnt lgkmcnt(3)
	;; [unrolled: 2-line block ×3, first 2 shown]
	ds_bpermute_b32 v3, v6, v3
	s_add_i32 s0, s0, -1
	s_cmp_lg_u32 s0, 0
	s_cbranch_scc1 .LBB133_1
; %bb.2:
	v_mov_b32_e32 v6, s3
	v_add_co_u32_e32 v4, vcc, s2, v4
	v_addc_co_u32_e32 v5, vcc, v6, v5, vcc
	s_waitcnt lgkmcnt(0)
	global_store_dwordx4 v[4:5], v[0:3], off
	s_endpgm
	.section	.rodata,"a",@progbits
	.p2align	6, 0x0
	.amdhsa_kernel _Z6kernelI9broadcastN15benchmark_utils11custom_typeIddEELj64ELj64ELj100EEvPKT0_PS4_S4_
		.amdhsa_group_segment_fixed_size 0
		.amdhsa_private_segment_fixed_size 0
		.amdhsa_kernarg_size 288
		.amdhsa_user_sgpr_count 6
		.amdhsa_user_sgpr_private_segment_buffer 1
		.amdhsa_user_sgpr_dispatch_ptr 0
		.amdhsa_user_sgpr_queue_ptr 0
		.amdhsa_user_sgpr_kernarg_segment_ptr 1
		.amdhsa_user_sgpr_dispatch_id 0
		.amdhsa_user_sgpr_flat_scratch_init 0
		.amdhsa_user_sgpr_private_segment_size 0
		.amdhsa_uses_dynamic_stack 0
		.amdhsa_system_sgpr_private_segment_wavefront_offset 0
		.amdhsa_system_sgpr_workgroup_id_x 1
		.amdhsa_system_sgpr_workgroup_id_y 0
		.amdhsa_system_sgpr_workgroup_id_z 0
		.amdhsa_system_sgpr_workgroup_info 0
		.amdhsa_system_vgpr_workitem_id 0
		.amdhsa_next_free_vgpr 7
		.amdhsa_next_free_sgpr 8
		.amdhsa_reserve_vcc 1
		.amdhsa_reserve_flat_scratch 0
		.amdhsa_float_round_mode_32 0
		.amdhsa_float_round_mode_16_64 0
		.amdhsa_float_denorm_mode_32 3
		.amdhsa_float_denorm_mode_16_64 3
		.amdhsa_dx10_clamp 1
		.amdhsa_ieee_mode 1
		.amdhsa_fp16_overflow 0
		.amdhsa_exception_fp_ieee_invalid_op 0
		.amdhsa_exception_fp_denorm_src 0
		.amdhsa_exception_fp_ieee_div_zero 0
		.amdhsa_exception_fp_ieee_overflow 0
		.amdhsa_exception_fp_ieee_underflow 0
		.amdhsa_exception_fp_ieee_inexact 0
		.amdhsa_exception_int_div_zero 0
	.end_amdhsa_kernel
	.section	.text._Z6kernelI9broadcastN15benchmark_utils11custom_typeIddEELj64ELj64ELj100EEvPKT0_PS4_S4_,"axG",@progbits,_Z6kernelI9broadcastN15benchmark_utils11custom_typeIddEELj64ELj64ELj100EEvPKT0_PS4_S4_,comdat
.Lfunc_end133:
	.size	_Z6kernelI9broadcastN15benchmark_utils11custom_typeIddEELj64ELj64ELj100EEvPKT0_PS4_S4_, .Lfunc_end133-_Z6kernelI9broadcastN15benchmark_utils11custom_typeIddEELj64ELj64ELj100EEvPKT0_PS4_S4_
                                        ; -- End function
	.set _Z6kernelI9broadcastN15benchmark_utils11custom_typeIddEELj64ELj64ELj100EEvPKT0_PS4_S4_.num_vgpr, 7
	.set _Z6kernelI9broadcastN15benchmark_utils11custom_typeIddEELj64ELj64ELj100EEvPKT0_PS4_S4_.num_agpr, 0
	.set _Z6kernelI9broadcastN15benchmark_utils11custom_typeIddEELj64ELj64ELj100EEvPKT0_PS4_S4_.numbered_sgpr, 8
	.set _Z6kernelI9broadcastN15benchmark_utils11custom_typeIddEELj64ELj64ELj100EEvPKT0_PS4_S4_.num_named_barrier, 0
	.set _Z6kernelI9broadcastN15benchmark_utils11custom_typeIddEELj64ELj64ELj100EEvPKT0_PS4_S4_.private_seg_size, 0
	.set _Z6kernelI9broadcastN15benchmark_utils11custom_typeIddEELj64ELj64ELj100EEvPKT0_PS4_S4_.uses_vcc, 1
	.set _Z6kernelI9broadcastN15benchmark_utils11custom_typeIddEELj64ELj64ELj100EEvPKT0_PS4_S4_.uses_flat_scratch, 0
	.set _Z6kernelI9broadcastN15benchmark_utils11custom_typeIddEELj64ELj64ELj100EEvPKT0_PS4_S4_.has_dyn_sized_stack, 0
	.set _Z6kernelI9broadcastN15benchmark_utils11custom_typeIddEELj64ELj64ELj100EEvPKT0_PS4_S4_.has_recursion, 0
	.set _Z6kernelI9broadcastN15benchmark_utils11custom_typeIddEELj64ELj64ELj100EEvPKT0_PS4_S4_.has_indirect_call, 0
	.section	.AMDGPU.csdata,"",@progbits
; Kernel info:
; codeLenInByte = 188
; TotalNumSgprs: 12
; NumVgprs: 7
; ScratchSize: 0
; MemoryBound: 0
; FloatMode: 240
; IeeeMode: 1
; LDSByteSize: 0 bytes/workgroup (compile time only)
; SGPRBlocks: 1
; VGPRBlocks: 1
; NumSGPRsForWavesPerEU: 12
; NumVGPRsForWavesPerEU: 7
; Occupancy: 10
; WaveLimiterHint : 0
; COMPUTE_PGM_RSRC2:SCRATCH_EN: 0
; COMPUTE_PGM_RSRC2:USER_SGPR: 6
; COMPUTE_PGM_RSRC2:TRAP_HANDLER: 0
; COMPUTE_PGM_RSRC2:TGID_X_EN: 1
; COMPUTE_PGM_RSRC2:TGID_Y_EN: 0
; COMPUTE_PGM_RSRC2:TGID_Z_EN: 0
; COMPUTE_PGM_RSRC2:TIDIG_COMP_CNT: 0
	.section	.text._Z6kernelI9broadcastN15benchmark_utils11custom_typeIddEELj128ELj64ELj100EEvPKT0_PS4_S4_,"axG",@progbits,_Z6kernelI9broadcastN15benchmark_utils11custom_typeIddEELj128ELj64ELj100EEvPKT0_PS4_S4_,comdat
	.protected	_Z6kernelI9broadcastN15benchmark_utils11custom_typeIddEELj128ELj64ELj100EEvPKT0_PS4_S4_ ; -- Begin function _Z6kernelI9broadcastN15benchmark_utils11custom_typeIddEELj128ELj64ELj100EEvPKT0_PS4_S4_
	.globl	_Z6kernelI9broadcastN15benchmark_utils11custom_typeIddEELj128ELj64ELj100EEvPKT0_PS4_S4_
	.p2align	8
	.type	_Z6kernelI9broadcastN15benchmark_utils11custom_typeIddEELj128ELj64ELj100EEvPKT0_PS4_S4_,@function
_Z6kernelI9broadcastN15benchmark_utils11custom_typeIddEELj128ELj64ELj100EEvPKT0_PS4_S4_: ; @_Z6kernelI9broadcastN15benchmark_utils11custom_typeIddEELj128ELj64ELj100EEvPKT0_PS4_S4_
; %bb.0:
	s_load_dword s7, s[4:5], 0x2c
	s_load_dwordx4 s[0:3], s[4:5], 0x0
	v_mov_b32_e32 v1, 0
	v_mbcnt_lo_u32_b32 v6, -1, 0
	v_mbcnt_hi_u32_b32 v6, -1, v6
	s_waitcnt lgkmcnt(0)
	s_and_b32 s4, s7, 0xffff
	s_mul_i32 s6, s6, s4
	v_add_u32_e32 v0, s6, v0
	v_lshlrev_b64 v[4:5], 4, v[0:1]
	v_mov_b32_e32 v1, s1
	v_add_co_u32_e32 v0, vcc, s0, v4
	v_addc_co_u32_e32 v1, vcc, v1, v5, vcc
	global_load_dwordx4 v[0:3], v[0:1], off
	v_lshlrev_b32_e32 v6, 2, v6
	v_and_b32_e32 v6, 0x100, v6
	s_movk_i32 s0, 0x64
.LBB134_1:                              ; =>This Inner Loop Header: Depth=1
	s_waitcnt vmcnt(0) lgkmcnt(3)
	ds_bpermute_b32 v0, v6, v0
	s_waitcnt lgkmcnt(3)
	ds_bpermute_b32 v1, v6, v1
	s_waitcnt lgkmcnt(3)
	;; [unrolled: 2-line block ×3, first 2 shown]
	ds_bpermute_b32 v3, v6, v3
	s_add_i32 s0, s0, -1
	s_cmp_lg_u32 s0, 0
	s_cbranch_scc1 .LBB134_1
; %bb.2:
	v_mov_b32_e32 v6, s3
	v_add_co_u32_e32 v4, vcc, s2, v4
	v_addc_co_u32_e32 v5, vcc, v6, v5, vcc
	s_waitcnt lgkmcnt(0)
	global_store_dwordx4 v[4:5], v[0:3], off
	s_endpgm
	.section	.rodata,"a",@progbits
	.p2align	6, 0x0
	.amdhsa_kernel _Z6kernelI9broadcastN15benchmark_utils11custom_typeIddEELj128ELj64ELj100EEvPKT0_PS4_S4_
		.amdhsa_group_segment_fixed_size 0
		.amdhsa_private_segment_fixed_size 0
		.amdhsa_kernarg_size 288
		.amdhsa_user_sgpr_count 6
		.amdhsa_user_sgpr_private_segment_buffer 1
		.amdhsa_user_sgpr_dispatch_ptr 0
		.amdhsa_user_sgpr_queue_ptr 0
		.amdhsa_user_sgpr_kernarg_segment_ptr 1
		.amdhsa_user_sgpr_dispatch_id 0
		.amdhsa_user_sgpr_flat_scratch_init 0
		.amdhsa_user_sgpr_private_segment_size 0
		.amdhsa_uses_dynamic_stack 0
		.amdhsa_system_sgpr_private_segment_wavefront_offset 0
		.amdhsa_system_sgpr_workgroup_id_x 1
		.amdhsa_system_sgpr_workgroup_id_y 0
		.amdhsa_system_sgpr_workgroup_id_z 0
		.amdhsa_system_sgpr_workgroup_info 0
		.amdhsa_system_vgpr_workitem_id 0
		.amdhsa_next_free_vgpr 7
		.amdhsa_next_free_sgpr 8
		.amdhsa_reserve_vcc 1
		.amdhsa_reserve_flat_scratch 0
		.amdhsa_float_round_mode_32 0
		.amdhsa_float_round_mode_16_64 0
		.amdhsa_float_denorm_mode_32 3
		.amdhsa_float_denorm_mode_16_64 3
		.amdhsa_dx10_clamp 1
		.amdhsa_ieee_mode 1
		.amdhsa_fp16_overflow 0
		.amdhsa_exception_fp_ieee_invalid_op 0
		.amdhsa_exception_fp_denorm_src 0
		.amdhsa_exception_fp_ieee_div_zero 0
		.amdhsa_exception_fp_ieee_overflow 0
		.amdhsa_exception_fp_ieee_underflow 0
		.amdhsa_exception_fp_ieee_inexact 0
		.amdhsa_exception_int_div_zero 0
	.end_amdhsa_kernel
	.section	.text._Z6kernelI9broadcastN15benchmark_utils11custom_typeIddEELj128ELj64ELj100EEvPKT0_PS4_S4_,"axG",@progbits,_Z6kernelI9broadcastN15benchmark_utils11custom_typeIddEELj128ELj64ELj100EEvPKT0_PS4_S4_,comdat
.Lfunc_end134:
	.size	_Z6kernelI9broadcastN15benchmark_utils11custom_typeIddEELj128ELj64ELj100EEvPKT0_PS4_S4_, .Lfunc_end134-_Z6kernelI9broadcastN15benchmark_utils11custom_typeIddEELj128ELj64ELj100EEvPKT0_PS4_S4_
                                        ; -- End function
	.set _Z6kernelI9broadcastN15benchmark_utils11custom_typeIddEELj128ELj64ELj100EEvPKT0_PS4_S4_.num_vgpr, 7
	.set _Z6kernelI9broadcastN15benchmark_utils11custom_typeIddEELj128ELj64ELj100EEvPKT0_PS4_S4_.num_agpr, 0
	.set _Z6kernelI9broadcastN15benchmark_utils11custom_typeIddEELj128ELj64ELj100EEvPKT0_PS4_S4_.numbered_sgpr, 8
	.set _Z6kernelI9broadcastN15benchmark_utils11custom_typeIddEELj128ELj64ELj100EEvPKT0_PS4_S4_.num_named_barrier, 0
	.set _Z6kernelI9broadcastN15benchmark_utils11custom_typeIddEELj128ELj64ELj100EEvPKT0_PS4_S4_.private_seg_size, 0
	.set _Z6kernelI9broadcastN15benchmark_utils11custom_typeIddEELj128ELj64ELj100EEvPKT0_PS4_S4_.uses_vcc, 1
	.set _Z6kernelI9broadcastN15benchmark_utils11custom_typeIddEELj128ELj64ELj100EEvPKT0_PS4_S4_.uses_flat_scratch, 0
	.set _Z6kernelI9broadcastN15benchmark_utils11custom_typeIddEELj128ELj64ELj100EEvPKT0_PS4_S4_.has_dyn_sized_stack, 0
	.set _Z6kernelI9broadcastN15benchmark_utils11custom_typeIddEELj128ELj64ELj100EEvPKT0_PS4_S4_.has_recursion, 0
	.set _Z6kernelI9broadcastN15benchmark_utils11custom_typeIddEELj128ELj64ELj100EEvPKT0_PS4_S4_.has_indirect_call, 0
	.section	.AMDGPU.csdata,"",@progbits
; Kernel info:
; codeLenInByte = 188
; TotalNumSgprs: 12
; NumVgprs: 7
; ScratchSize: 0
; MemoryBound: 0
; FloatMode: 240
; IeeeMode: 1
; LDSByteSize: 0 bytes/workgroup (compile time only)
; SGPRBlocks: 1
; VGPRBlocks: 1
; NumSGPRsForWavesPerEU: 12
; NumVGPRsForWavesPerEU: 7
; Occupancy: 10
; WaveLimiterHint : 0
; COMPUTE_PGM_RSRC2:SCRATCH_EN: 0
; COMPUTE_PGM_RSRC2:USER_SGPR: 6
; COMPUTE_PGM_RSRC2:TRAP_HANDLER: 0
; COMPUTE_PGM_RSRC2:TGID_X_EN: 1
; COMPUTE_PGM_RSRC2:TGID_Y_EN: 0
; COMPUTE_PGM_RSRC2:TGID_Z_EN: 0
; COMPUTE_PGM_RSRC2:TIDIG_COMP_CNT: 0
	.section	.text._Z6kernelI9broadcastN15benchmark_utils11custom_typeIddEELj256ELj64ELj100EEvPKT0_PS4_S4_,"axG",@progbits,_Z6kernelI9broadcastN15benchmark_utils11custom_typeIddEELj256ELj64ELj100EEvPKT0_PS4_S4_,comdat
	.protected	_Z6kernelI9broadcastN15benchmark_utils11custom_typeIddEELj256ELj64ELj100EEvPKT0_PS4_S4_ ; -- Begin function _Z6kernelI9broadcastN15benchmark_utils11custom_typeIddEELj256ELj64ELj100EEvPKT0_PS4_S4_
	.globl	_Z6kernelI9broadcastN15benchmark_utils11custom_typeIddEELj256ELj64ELj100EEvPKT0_PS4_S4_
	.p2align	8
	.type	_Z6kernelI9broadcastN15benchmark_utils11custom_typeIddEELj256ELj64ELj100EEvPKT0_PS4_S4_,@function
_Z6kernelI9broadcastN15benchmark_utils11custom_typeIddEELj256ELj64ELj100EEvPKT0_PS4_S4_: ; @_Z6kernelI9broadcastN15benchmark_utils11custom_typeIddEELj256ELj64ELj100EEvPKT0_PS4_S4_
; %bb.0:
	s_load_dword s7, s[4:5], 0x2c
	s_load_dwordx4 s[0:3], s[4:5], 0x0
	v_mov_b32_e32 v1, 0
	v_mbcnt_lo_u32_b32 v6, -1, 0
	v_mbcnt_hi_u32_b32 v6, -1, v6
	s_waitcnt lgkmcnt(0)
	s_and_b32 s4, s7, 0xffff
	s_mul_i32 s6, s6, s4
	v_add_u32_e32 v0, s6, v0
	v_lshlrev_b64 v[4:5], 4, v[0:1]
	v_mov_b32_e32 v1, s1
	v_add_co_u32_e32 v0, vcc, s0, v4
	v_addc_co_u32_e32 v1, vcc, v1, v5, vcc
	global_load_dwordx4 v[0:3], v[0:1], off
	v_lshlrev_b32_e32 v6, 2, v6
	v_and_b32_e32 v6, 0x100, v6
	s_movk_i32 s0, 0x64
.LBB135_1:                              ; =>This Inner Loop Header: Depth=1
	s_waitcnt vmcnt(0) lgkmcnt(3)
	ds_bpermute_b32 v0, v6, v0
	s_waitcnt lgkmcnt(3)
	ds_bpermute_b32 v1, v6, v1
	s_waitcnt lgkmcnt(3)
	;; [unrolled: 2-line block ×3, first 2 shown]
	ds_bpermute_b32 v3, v6, v3
	s_add_i32 s0, s0, -1
	s_cmp_lg_u32 s0, 0
	s_cbranch_scc1 .LBB135_1
; %bb.2:
	v_mov_b32_e32 v6, s3
	v_add_co_u32_e32 v4, vcc, s2, v4
	v_addc_co_u32_e32 v5, vcc, v6, v5, vcc
	s_waitcnt lgkmcnt(0)
	global_store_dwordx4 v[4:5], v[0:3], off
	s_endpgm
	.section	.rodata,"a",@progbits
	.p2align	6, 0x0
	.amdhsa_kernel _Z6kernelI9broadcastN15benchmark_utils11custom_typeIddEELj256ELj64ELj100EEvPKT0_PS4_S4_
		.amdhsa_group_segment_fixed_size 0
		.amdhsa_private_segment_fixed_size 0
		.amdhsa_kernarg_size 288
		.amdhsa_user_sgpr_count 6
		.amdhsa_user_sgpr_private_segment_buffer 1
		.amdhsa_user_sgpr_dispatch_ptr 0
		.amdhsa_user_sgpr_queue_ptr 0
		.amdhsa_user_sgpr_kernarg_segment_ptr 1
		.amdhsa_user_sgpr_dispatch_id 0
		.amdhsa_user_sgpr_flat_scratch_init 0
		.amdhsa_user_sgpr_private_segment_size 0
		.amdhsa_uses_dynamic_stack 0
		.amdhsa_system_sgpr_private_segment_wavefront_offset 0
		.amdhsa_system_sgpr_workgroup_id_x 1
		.amdhsa_system_sgpr_workgroup_id_y 0
		.amdhsa_system_sgpr_workgroup_id_z 0
		.amdhsa_system_sgpr_workgroup_info 0
		.amdhsa_system_vgpr_workitem_id 0
		.amdhsa_next_free_vgpr 7
		.amdhsa_next_free_sgpr 8
		.amdhsa_reserve_vcc 1
		.amdhsa_reserve_flat_scratch 0
		.amdhsa_float_round_mode_32 0
		.amdhsa_float_round_mode_16_64 0
		.amdhsa_float_denorm_mode_32 3
		.amdhsa_float_denorm_mode_16_64 3
		.amdhsa_dx10_clamp 1
		.amdhsa_ieee_mode 1
		.amdhsa_fp16_overflow 0
		.amdhsa_exception_fp_ieee_invalid_op 0
		.amdhsa_exception_fp_denorm_src 0
		.amdhsa_exception_fp_ieee_div_zero 0
		.amdhsa_exception_fp_ieee_overflow 0
		.amdhsa_exception_fp_ieee_underflow 0
		.amdhsa_exception_fp_ieee_inexact 0
		.amdhsa_exception_int_div_zero 0
	.end_amdhsa_kernel
	.section	.text._Z6kernelI9broadcastN15benchmark_utils11custom_typeIddEELj256ELj64ELj100EEvPKT0_PS4_S4_,"axG",@progbits,_Z6kernelI9broadcastN15benchmark_utils11custom_typeIddEELj256ELj64ELj100EEvPKT0_PS4_S4_,comdat
.Lfunc_end135:
	.size	_Z6kernelI9broadcastN15benchmark_utils11custom_typeIddEELj256ELj64ELj100EEvPKT0_PS4_S4_, .Lfunc_end135-_Z6kernelI9broadcastN15benchmark_utils11custom_typeIddEELj256ELj64ELj100EEvPKT0_PS4_S4_
                                        ; -- End function
	.set _Z6kernelI9broadcastN15benchmark_utils11custom_typeIddEELj256ELj64ELj100EEvPKT0_PS4_S4_.num_vgpr, 7
	.set _Z6kernelI9broadcastN15benchmark_utils11custom_typeIddEELj256ELj64ELj100EEvPKT0_PS4_S4_.num_agpr, 0
	.set _Z6kernelI9broadcastN15benchmark_utils11custom_typeIddEELj256ELj64ELj100EEvPKT0_PS4_S4_.numbered_sgpr, 8
	.set _Z6kernelI9broadcastN15benchmark_utils11custom_typeIddEELj256ELj64ELj100EEvPKT0_PS4_S4_.num_named_barrier, 0
	.set _Z6kernelI9broadcastN15benchmark_utils11custom_typeIddEELj256ELj64ELj100EEvPKT0_PS4_S4_.private_seg_size, 0
	.set _Z6kernelI9broadcastN15benchmark_utils11custom_typeIddEELj256ELj64ELj100EEvPKT0_PS4_S4_.uses_vcc, 1
	.set _Z6kernelI9broadcastN15benchmark_utils11custom_typeIddEELj256ELj64ELj100EEvPKT0_PS4_S4_.uses_flat_scratch, 0
	.set _Z6kernelI9broadcastN15benchmark_utils11custom_typeIddEELj256ELj64ELj100EEvPKT0_PS4_S4_.has_dyn_sized_stack, 0
	.set _Z6kernelI9broadcastN15benchmark_utils11custom_typeIddEELj256ELj64ELj100EEvPKT0_PS4_S4_.has_recursion, 0
	.set _Z6kernelI9broadcastN15benchmark_utils11custom_typeIddEELj256ELj64ELj100EEvPKT0_PS4_S4_.has_indirect_call, 0
	.section	.AMDGPU.csdata,"",@progbits
; Kernel info:
; codeLenInByte = 188
; TotalNumSgprs: 12
; NumVgprs: 7
; ScratchSize: 0
; MemoryBound: 0
; FloatMode: 240
; IeeeMode: 1
; LDSByteSize: 0 bytes/workgroup (compile time only)
; SGPRBlocks: 1
; VGPRBlocks: 1
; NumSGPRsForWavesPerEU: 12
; NumVGPRsForWavesPerEU: 7
; Occupancy: 10
; WaveLimiterHint : 0
; COMPUTE_PGM_RSRC2:SCRATCH_EN: 0
; COMPUTE_PGM_RSRC2:USER_SGPR: 6
; COMPUTE_PGM_RSRC2:TRAP_HANDLER: 0
; COMPUTE_PGM_RSRC2:TGID_X_EN: 1
; COMPUTE_PGM_RSRC2:TGID_Y_EN: 0
; COMPUTE_PGM_RSRC2:TGID_Z_EN: 0
; COMPUTE_PGM_RSRC2:TIDIG_COMP_CNT: 0
	.section	.text._Z6kernelI9broadcastN15benchmark_utils11custom_typeIidEELj60ELj15ELj100EEvPKT0_PS4_S4_,"axG",@progbits,_Z6kernelI9broadcastN15benchmark_utils11custom_typeIidEELj60ELj15ELj100EEvPKT0_PS4_S4_,comdat
	.protected	_Z6kernelI9broadcastN15benchmark_utils11custom_typeIidEELj60ELj15ELj100EEvPKT0_PS4_S4_ ; -- Begin function _Z6kernelI9broadcastN15benchmark_utils11custom_typeIidEELj60ELj15ELj100EEvPKT0_PS4_S4_
	.globl	_Z6kernelI9broadcastN15benchmark_utils11custom_typeIidEELj60ELj15ELj100EEvPKT0_PS4_S4_
	.p2align	8
	.type	_Z6kernelI9broadcastN15benchmark_utils11custom_typeIidEELj60ELj15ELj100EEvPKT0_PS4_S4_,@function
_Z6kernelI9broadcastN15benchmark_utils11custom_typeIidEELj60ELj15ELj100EEvPKT0_PS4_S4_: ; @_Z6kernelI9broadcastN15benchmark_utils11custom_typeIidEELj60ELj15ELj100EEvPKT0_PS4_S4_
; %bb.0:
	s_load_dword s7, s[4:5], 0x2c
	s_load_dwordx4 s[0:3], s[4:5], 0x0
	v_mov_b32_e32 v1, 0
	s_waitcnt lgkmcnt(0)
	s_and_b32 s4, s7, 0xffff
	s_mul_i32 s6, s6, s4
	v_add_u32_e32 v0, s6, v0
	v_lshlrev_b64 v[2:3], 4, v[0:1]
	v_mov_b32_e32 v0, s1
	v_add_co_u32_e32 v6, vcc, s0, v2
	v_addc_co_u32_e32 v7, vcc, v0, v3, vcc
	global_load_dwordx2 v[4:5], v[6:7], off offset:8
	global_load_dword v0, v[6:7], off
	v_mbcnt_lo_u32_b32 v6, -1, 0
	v_mbcnt_hi_u32_b32 v6, -1, v6
	s_mov_b32 s0, 0xeeeeeeef
	v_mul_lo_u32 v6, v6, s0
	s_mov_b32 s0, 0x11111112
	s_movk_i32 s4, 0x64
	v_cmp_gt_u32_e32 vcc, s0, v6
	s_branch .LBB136_2
.LBB136_1:                              ;   in Loop: Header=BB136_2 Depth=1
	s_or_b64 exec, exec, s[0:1]
	; wave barrier
	s_waitcnt vmcnt(0) lgkmcnt(1)
	ds_read_b32 v0, v1
	s_waitcnt lgkmcnt(1)
	ds_read_b64 v[4:5], v1 offset:8
	s_add_i32 s4, s4, -1
	s_cmp_lg_u32 s4, 0
	s_cbranch_scc0 .LBB136_4
.LBB136_2:                              ; =>This Inner Loop Header: Depth=1
	s_and_saveexec_b64 s[0:1], vcc
	s_cbranch_execz .LBB136_1
; %bb.3:                                ;   in Loop: Header=BB136_2 Depth=1
	s_waitcnt vmcnt(0) lgkmcnt(1)
	ds_write_b32 v1, v0
	s_waitcnt lgkmcnt(1)
	ds_write_b64 v1, v[4:5] offset:8
	s_branch .LBB136_1
.LBB136_4:
	v_mov_b32_e32 v6, s3
	v_add_co_u32_e32 v1, vcc, s2, v2
	v_addc_co_u32_e32 v2, vcc, v6, v3, vcc
	s_waitcnt lgkmcnt(1)
	global_store_dword v[1:2], v0, off
	s_waitcnt lgkmcnt(0)
	global_store_dwordx2 v[1:2], v[4:5], off offset:8
	s_endpgm
	.section	.rodata,"a",@progbits
	.p2align	6, 0x0
	.amdhsa_kernel _Z6kernelI9broadcastN15benchmark_utils11custom_typeIidEELj60ELj15ELj100EEvPKT0_PS4_S4_
		.amdhsa_group_segment_fixed_size 240
		.amdhsa_private_segment_fixed_size 0
		.amdhsa_kernarg_size 288
		.amdhsa_user_sgpr_count 6
		.amdhsa_user_sgpr_private_segment_buffer 1
		.amdhsa_user_sgpr_dispatch_ptr 0
		.amdhsa_user_sgpr_queue_ptr 0
		.amdhsa_user_sgpr_kernarg_segment_ptr 1
		.amdhsa_user_sgpr_dispatch_id 0
		.amdhsa_user_sgpr_flat_scratch_init 0
		.amdhsa_user_sgpr_private_segment_size 0
		.amdhsa_uses_dynamic_stack 0
		.amdhsa_system_sgpr_private_segment_wavefront_offset 0
		.amdhsa_system_sgpr_workgroup_id_x 1
		.amdhsa_system_sgpr_workgroup_id_y 0
		.amdhsa_system_sgpr_workgroup_id_z 0
		.amdhsa_system_sgpr_workgroup_info 0
		.amdhsa_system_vgpr_workitem_id 0
		.amdhsa_next_free_vgpr 8
		.amdhsa_next_free_sgpr 8
		.amdhsa_reserve_vcc 1
		.amdhsa_reserve_flat_scratch 0
		.amdhsa_float_round_mode_32 0
		.amdhsa_float_round_mode_16_64 0
		.amdhsa_float_denorm_mode_32 3
		.amdhsa_float_denorm_mode_16_64 3
		.amdhsa_dx10_clamp 1
		.amdhsa_ieee_mode 1
		.amdhsa_fp16_overflow 0
		.amdhsa_exception_fp_ieee_invalid_op 0
		.amdhsa_exception_fp_denorm_src 0
		.amdhsa_exception_fp_ieee_div_zero 0
		.amdhsa_exception_fp_ieee_overflow 0
		.amdhsa_exception_fp_ieee_underflow 0
		.amdhsa_exception_fp_ieee_inexact 0
		.amdhsa_exception_int_div_zero 0
	.end_amdhsa_kernel
	.section	.text._Z6kernelI9broadcastN15benchmark_utils11custom_typeIidEELj60ELj15ELj100EEvPKT0_PS4_S4_,"axG",@progbits,_Z6kernelI9broadcastN15benchmark_utils11custom_typeIidEELj60ELj15ELj100EEvPKT0_PS4_S4_,comdat
.Lfunc_end136:
	.size	_Z6kernelI9broadcastN15benchmark_utils11custom_typeIidEELj60ELj15ELj100EEvPKT0_PS4_S4_, .Lfunc_end136-_Z6kernelI9broadcastN15benchmark_utils11custom_typeIidEELj60ELj15ELj100EEvPKT0_PS4_S4_
                                        ; -- End function
	.set _Z6kernelI9broadcastN15benchmark_utils11custom_typeIidEELj60ELj15ELj100EEvPKT0_PS4_S4_.num_vgpr, 8
	.set _Z6kernelI9broadcastN15benchmark_utils11custom_typeIidEELj60ELj15ELj100EEvPKT0_PS4_S4_.num_agpr, 0
	.set _Z6kernelI9broadcastN15benchmark_utils11custom_typeIidEELj60ELj15ELj100EEvPKT0_PS4_S4_.numbered_sgpr, 8
	.set _Z6kernelI9broadcastN15benchmark_utils11custom_typeIidEELj60ELj15ELj100EEvPKT0_PS4_S4_.num_named_barrier, 0
	.set _Z6kernelI9broadcastN15benchmark_utils11custom_typeIidEELj60ELj15ELj100EEvPKT0_PS4_S4_.private_seg_size, 0
	.set _Z6kernelI9broadcastN15benchmark_utils11custom_typeIidEELj60ELj15ELj100EEvPKT0_PS4_S4_.uses_vcc, 1
	.set _Z6kernelI9broadcastN15benchmark_utils11custom_typeIidEELj60ELj15ELj100EEvPKT0_PS4_S4_.uses_flat_scratch, 0
	.set _Z6kernelI9broadcastN15benchmark_utils11custom_typeIidEELj60ELj15ELj100EEvPKT0_PS4_S4_.has_dyn_sized_stack, 0
	.set _Z6kernelI9broadcastN15benchmark_utils11custom_typeIidEELj60ELj15ELj100EEvPKT0_PS4_S4_.has_recursion, 0
	.set _Z6kernelI9broadcastN15benchmark_utils11custom_typeIidEELj60ELj15ELj100EEvPKT0_PS4_S4_.has_indirect_call, 0
	.section	.AMDGPU.csdata,"",@progbits
; Kernel info:
; codeLenInByte = 244
; TotalNumSgprs: 12
; NumVgprs: 8
; ScratchSize: 0
; MemoryBound: 0
; FloatMode: 240
; IeeeMode: 1
; LDSByteSize: 240 bytes/workgroup (compile time only)
; SGPRBlocks: 1
; VGPRBlocks: 1
; NumSGPRsForWavesPerEU: 12
; NumVGPRsForWavesPerEU: 8
; Occupancy: 10
; WaveLimiterHint : 0
; COMPUTE_PGM_RSRC2:SCRATCH_EN: 0
; COMPUTE_PGM_RSRC2:USER_SGPR: 6
; COMPUTE_PGM_RSRC2:TRAP_HANDLER: 0
; COMPUTE_PGM_RSRC2:TGID_X_EN: 1
; COMPUTE_PGM_RSRC2:TGID_Y_EN: 0
; COMPUTE_PGM_RSRC2:TGID_Z_EN: 0
; COMPUTE_PGM_RSRC2:TIDIG_COMP_CNT: 0
	.section	.text._Z6kernelI9broadcastN15benchmark_utils11custom_typeIidEELj256ELj16ELj100EEvPKT0_PS4_S4_,"axG",@progbits,_Z6kernelI9broadcastN15benchmark_utils11custom_typeIidEELj256ELj16ELj100EEvPKT0_PS4_S4_,comdat
	.protected	_Z6kernelI9broadcastN15benchmark_utils11custom_typeIidEELj256ELj16ELj100EEvPKT0_PS4_S4_ ; -- Begin function _Z6kernelI9broadcastN15benchmark_utils11custom_typeIidEELj256ELj16ELj100EEvPKT0_PS4_S4_
	.globl	_Z6kernelI9broadcastN15benchmark_utils11custom_typeIidEELj256ELj16ELj100EEvPKT0_PS4_S4_
	.p2align	8
	.type	_Z6kernelI9broadcastN15benchmark_utils11custom_typeIidEELj256ELj16ELj100EEvPKT0_PS4_S4_,@function
_Z6kernelI9broadcastN15benchmark_utils11custom_typeIidEELj256ELj16ELj100EEvPKT0_PS4_S4_: ; @_Z6kernelI9broadcastN15benchmark_utils11custom_typeIidEELj256ELj16ELj100EEvPKT0_PS4_S4_
; %bb.0:
	s_load_dword s7, s[4:5], 0x2c
	s_load_dwordx4 s[0:3], s[4:5], 0x0
	v_mov_b32_e32 v1, 0
	s_waitcnt lgkmcnt(0)
	s_and_b32 s4, s7, 0xffff
	s_mul_i32 s6, s6, s4
	v_add_u32_e32 v0, s6, v0
	v_lshlrev_b64 v[0:1], 4, v[0:1]
	v_mov_b32_e32 v2, s1
	v_add_co_u32_e32 v5, vcc, s0, v0
	v_addc_co_u32_e32 v6, vcc, v2, v1, vcc
	global_load_dword v4, v[5:6], off
	global_load_dwordx2 v[2:3], v[5:6], off offset:8
	v_mbcnt_lo_u32_b32 v5, -1, 0
	v_mbcnt_hi_u32_b32 v5, -1, v5
	v_lshlrev_b32_e32 v5, 2, v5
	v_and_b32_e32 v5, 0x1c0, v5
	s_movk_i32 s0, 0x64
.LBB137_1:                              ; =>This Inner Loop Header: Depth=1
	s_waitcnt vmcnt(1) lgkmcnt(2)
	ds_bpermute_b32 v4, v5, v4
	s_waitcnt vmcnt(0) lgkmcnt(2)
	ds_bpermute_b32 v2, v5, v2
	s_waitcnt lgkmcnt(2)
	ds_bpermute_b32 v3, v5, v3
	s_add_i32 s0, s0, -1
	s_cmp_lg_u32 s0, 0
	s_cbranch_scc1 .LBB137_1
; %bb.2:
	v_mov_b32_e32 v5, s3
	v_add_co_u32_e32 v0, vcc, s2, v0
	v_addc_co_u32_e32 v1, vcc, v5, v1, vcc
	s_waitcnt lgkmcnt(2)
	global_store_dword v[0:1], v4, off
	s_waitcnt lgkmcnt(0)
	global_store_dwordx2 v[0:1], v[2:3], off offset:8
	s_endpgm
	.section	.rodata,"a",@progbits
	.p2align	6, 0x0
	.amdhsa_kernel _Z6kernelI9broadcastN15benchmark_utils11custom_typeIidEELj256ELj16ELj100EEvPKT0_PS4_S4_
		.amdhsa_group_segment_fixed_size 0
		.amdhsa_private_segment_fixed_size 0
		.amdhsa_kernarg_size 288
		.amdhsa_user_sgpr_count 6
		.amdhsa_user_sgpr_private_segment_buffer 1
		.amdhsa_user_sgpr_dispatch_ptr 0
		.amdhsa_user_sgpr_queue_ptr 0
		.amdhsa_user_sgpr_kernarg_segment_ptr 1
		.amdhsa_user_sgpr_dispatch_id 0
		.amdhsa_user_sgpr_flat_scratch_init 0
		.amdhsa_user_sgpr_private_segment_size 0
		.amdhsa_uses_dynamic_stack 0
		.amdhsa_system_sgpr_private_segment_wavefront_offset 0
		.amdhsa_system_sgpr_workgroup_id_x 1
		.amdhsa_system_sgpr_workgroup_id_y 0
		.amdhsa_system_sgpr_workgroup_id_z 0
		.amdhsa_system_sgpr_workgroup_info 0
		.amdhsa_system_vgpr_workitem_id 0
		.amdhsa_next_free_vgpr 7
		.amdhsa_next_free_sgpr 8
		.amdhsa_reserve_vcc 1
		.amdhsa_reserve_flat_scratch 0
		.amdhsa_float_round_mode_32 0
		.amdhsa_float_round_mode_16_64 0
		.amdhsa_float_denorm_mode_32 3
		.amdhsa_float_denorm_mode_16_64 3
		.amdhsa_dx10_clamp 1
		.amdhsa_ieee_mode 1
		.amdhsa_fp16_overflow 0
		.amdhsa_exception_fp_ieee_invalid_op 0
		.amdhsa_exception_fp_denorm_src 0
		.amdhsa_exception_fp_ieee_div_zero 0
		.amdhsa_exception_fp_ieee_overflow 0
		.amdhsa_exception_fp_ieee_underflow 0
		.amdhsa_exception_fp_ieee_inexact 0
		.amdhsa_exception_int_div_zero 0
	.end_amdhsa_kernel
	.section	.text._Z6kernelI9broadcastN15benchmark_utils11custom_typeIidEELj256ELj16ELj100EEvPKT0_PS4_S4_,"axG",@progbits,_Z6kernelI9broadcastN15benchmark_utils11custom_typeIidEELj256ELj16ELj100EEvPKT0_PS4_S4_,comdat
.Lfunc_end137:
	.size	_Z6kernelI9broadcastN15benchmark_utils11custom_typeIidEELj256ELj16ELj100EEvPKT0_PS4_S4_, .Lfunc_end137-_Z6kernelI9broadcastN15benchmark_utils11custom_typeIidEELj256ELj16ELj100EEvPKT0_PS4_S4_
                                        ; -- End function
	.set _Z6kernelI9broadcastN15benchmark_utils11custom_typeIidEELj256ELj16ELj100EEvPKT0_PS4_S4_.num_vgpr, 7
	.set _Z6kernelI9broadcastN15benchmark_utils11custom_typeIidEELj256ELj16ELj100EEvPKT0_PS4_S4_.num_agpr, 0
	.set _Z6kernelI9broadcastN15benchmark_utils11custom_typeIidEELj256ELj16ELj100EEvPKT0_PS4_S4_.numbered_sgpr, 8
	.set _Z6kernelI9broadcastN15benchmark_utils11custom_typeIidEELj256ELj16ELj100EEvPKT0_PS4_S4_.num_named_barrier, 0
	.set _Z6kernelI9broadcastN15benchmark_utils11custom_typeIidEELj256ELj16ELj100EEvPKT0_PS4_S4_.private_seg_size, 0
	.set _Z6kernelI9broadcastN15benchmark_utils11custom_typeIidEELj256ELj16ELj100EEvPKT0_PS4_S4_.uses_vcc, 1
	.set _Z6kernelI9broadcastN15benchmark_utils11custom_typeIidEELj256ELj16ELj100EEvPKT0_PS4_S4_.uses_flat_scratch, 0
	.set _Z6kernelI9broadcastN15benchmark_utils11custom_typeIidEELj256ELj16ELj100EEvPKT0_PS4_S4_.has_dyn_sized_stack, 0
	.set _Z6kernelI9broadcastN15benchmark_utils11custom_typeIidEELj256ELj16ELj100EEvPKT0_PS4_S4_.has_recursion, 0
	.set _Z6kernelI9broadcastN15benchmark_utils11custom_typeIidEELj256ELj16ELj100EEvPKT0_PS4_S4_.has_indirect_call, 0
	.section	.AMDGPU.csdata,"",@progbits
; Kernel info:
; codeLenInByte = 196
; TotalNumSgprs: 12
; NumVgprs: 7
; ScratchSize: 0
; MemoryBound: 0
; FloatMode: 240
; IeeeMode: 1
; LDSByteSize: 0 bytes/workgroup (compile time only)
; SGPRBlocks: 1
; VGPRBlocks: 1
; NumSGPRsForWavesPerEU: 12
; NumVGPRsForWavesPerEU: 7
; Occupancy: 10
; WaveLimiterHint : 0
; COMPUTE_PGM_RSRC2:SCRATCH_EN: 0
; COMPUTE_PGM_RSRC2:USER_SGPR: 6
; COMPUTE_PGM_RSRC2:TRAP_HANDLER: 0
; COMPUTE_PGM_RSRC2:TGID_X_EN: 1
; COMPUTE_PGM_RSRC2:TGID_Y_EN: 0
; COMPUTE_PGM_RSRC2:TGID_Z_EN: 0
; COMPUTE_PGM_RSRC2:TIDIG_COMP_CNT: 0
	.section	.text._Z6kernelI9broadcastN15benchmark_utils11custom_typeIidEELj62ELj31ELj100EEvPKT0_PS4_S4_,"axG",@progbits,_Z6kernelI9broadcastN15benchmark_utils11custom_typeIidEELj62ELj31ELj100EEvPKT0_PS4_S4_,comdat
	.protected	_Z6kernelI9broadcastN15benchmark_utils11custom_typeIidEELj62ELj31ELj100EEvPKT0_PS4_S4_ ; -- Begin function _Z6kernelI9broadcastN15benchmark_utils11custom_typeIidEELj62ELj31ELj100EEvPKT0_PS4_S4_
	.globl	_Z6kernelI9broadcastN15benchmark_utils11custom_typeIidEELj62ELj31ELj100EEvPKT0_PS4_S4_
	.p2align	8
	.type	_Z6kernelI9broadcastN15benchmark_utils11custom_typeIidEELj62ELj31ELj100EEvPKT0_PS4_S4_,@function
_Z6kernelI9broadcastN15benchmark_utils11custom_typeIidEELj62ELj31ELj100EEvPKT0_PS4_S4_: ; @_Z6kernelI9broadcastN15benchmark_utils11custom_typeIidEELj62ELj31ELj100EEvPKT0_PS4_S4_
; %bb.0:
	s_load_dword s7, s[4:5], 0x2c
	s_load_dwordx4 s[0:3], s[4:5], 0x0
	v_mov_b32_e32 v1, 0
	s_waitcnt lgkmcnt(0)
	s_and_b32 s4, s7, 0xffff
	s_mul_i32 s6, s6, s4
	v_add_u32_e32 v0, s6, v0
	v_lshlrev_b64 v[2:3], 4, v[0:1]
	v_mov_b32_e32 v0, s1
	v_add_co_u32_e32 v6, vcc, s0, v2
	v_addc_co_u32_e32 v7, vcc, v0, v3, vcc
	global_load_dwordx2 v[4:5], v[6:7], off offset:8
	global_load_dword v0, v[6:7], off
	v_mbcnt_lo_u32_b32 v6, -1, 0
	v_mbcnt_hi_u32_b32 v6, -1, v6
	s_mov_b32 s0, 0xbdef7bdf
	v_mul_lo_u32 v6, v6, s0
	s_mov_b32 s0, 0x8421085
	s_movk_i32 s4, 0x64
	v_cmp_gt_u32_e32 vcc, s0, v6
	s_branch .LBB138_2
.LBB138_1:                              ;   in Loop: Header=BB138_2 Depth=1
	s_or_b64 exec, exec, s[0:1]
	; wave barrier
	s_waitcnt vmcnt(0) lgkmcnt(1)
	ds_read_b32 v0, v1
	s_waitcnt lgkmcnt(1)
	ds_read_b64 v[4:5], v1 offset:8
	s_add_i32 s4, s4, -1
	s_cmp_lg_u32 s4, 0
	s_cbranch_scc0 .LBB138_4
.LBB138_2:                              ; =>This Inner Loop Header: Depth=1
	s_and_saveexec_b64 s[0:1], vcc
	s_cbranch_execz .LBB138_1
; %bb.3:                                ;   in Loop: Header=BB138_2 Depth=1
	s_waitcnt vmcnt(0) lgkmcnt(1)
	ds_write_b32 v1, v0
	s_waitcnt lgkmcnt(1)
	ds_write_b64 v1, v[4:5] offset:8
	s_branch .LBB138_1
.LBB138_4:
	v_mov_b32_e32 v6, s3
	v_add_co_u32_e32 v1, vcc, s2, v2
	v_addc_co_u32_e32 v2, vcc, v6, v3, vcc
	s_waitcnt lgkmcnt(1)
	global_store_dword v[1:2], v0, off
	s_waitcnt lgkmcnt(0)
	global_store_dwordx2 v[1:2], v[4:5], off offset:8
	s_endpgm
	.section	.rodata,"a",@progbits
	.p2align	6, 0x0
	.amdhsa_kernel _Z6kernelI9broadcastN15benchmark_utils11custom_typeIidEELj62ELj31ELj100EEvPKT0_PS4_S4_
		.amdhsa_group_segment_fixed_size 496
		.amdhsa_private_segment_fixed_size 0
		.amdhsa_kernarg_size 288
		.amdhsa_user_sgpr_count 6
		.amdhsa_user_sgpr_private_segment_buffer 1
		.amdhsa_user_sgpr_dispatch_ptr 0
		.amdhsa_user_sgpr_queue_ptr 0
		.amdhsa_user_sgpr_kernarg_segment_ptr 1
		.amdhsa_user_sgpr_dispatch_id 0
		.amdhsa_user_sgpr_flat_scratch_init 0
		.amdhsa_user_sgpr_private_segment_size 0
		.amdhsa_uses_dynamic_stack 0
		.amdhsa_system_sgpr_private_segment_wavefront_offset 0
		.amdhsa_system_sgpr_workgroup_id_x 1
		.amdhsa_system_sgpr_workgroup_id_y 0
		.amdhsa_system_sgpr_workgroup_id_z 0
		.amdhsa_system_sgpr_workgroup_info 0
		.amdhsa_system_vgpr_workitem_id 0
		.amdhsa_next_free_vgpr 8
		.amdhsa_next_free_sgpr 8
		.amdhsa_reserve_vcc 1
		.amdhsa_reserve_flat_scratch 0
		.amdhsa_float_round_mode_32 0
		.amdhsa_float_round_mode_16_64 0
		.amdhsa_float_denorm_mode_32 3
		.amdhsa_float_denorm_mode_16_64 3
		.amdhsa_dx10_clamp 1
		.amdhsa_ieee_mode 1
		.amdhsa_fp16_overflow 0
		.amdhsa_exception_fp_ieee_invalid_op 0
		.amdhsa_exception_fp_denorm_src 0
		.amdhsa_exception_fp_ieee_div_zero 0
		.amdhsa_exception_fp_ieee_overflow 0
		.amdhsa_exception_fp_ieee_underflow 0
		.amdhsa_exception_fp_ieee_inexact 0
		.amdhsa_exception_int_div_zero 0
	.end_amdhsa_kernel
	.section	.text._Z6kernelI9broadcastN15benchmark_utils11custom_typeIidEELj62ELj31ELj100EEvPKT0_PS4_S4_,"axG",@progbits,_Z6kernelI9broadcastN15benchmark_utils11custom_typeIidEELj62ELj31ELj100EEvPKT0_PS4_S4_,comdat
.Lfunc_end138:
	.size	_Z6kernelI9broadcastN15benchmark_utils11custom_typeIidEELj62ELj31ELj100EEvPKT0_PS4_S4_, .Lfunc_end138-_Z6kernelI9broadcastN15benchmark_utils11custom_typeIidEELj62ELj31ELj100EEvPKT0_PS4_S4_
                                        ; -- End function
	.set _Z6kernelI9broadcastN15benchmark_utils11custom_typeIidEELj62ELj31ELj100EEvPKT0_PS4_S4_.num_vgpr, 8
	.set _Z6kernelI9broadcastN15benchmark_utils11custom_typeIidEELj62ELj31ELj100EEvPKT0_PS4_S4_.num_agpr, 0
	.set _Z6kernelI9broadcastN15benchmark_utils11custom_typeIidEELj62ELj31ELj100EEvPKT0_PS4_S4_.numbered_sgpr, 8
	.set _Z6kernelI9broadcastN15benchmark_utils11custom_typeIidEELj62ELj31ELj100EEvPKT0_PS4_S4_.num_named_barrier, 0
	.set _Z6kernelI9broadcastN15benchmark_utils11custom_typeIidEELj62ELj31ELj100EEvPKT0_PS4_S4_.private_seg_size, 0
	.set _Z6kernelI9broadcastN15benchmark_utils11custom_typeIidEELj62ELj31ELj100EEvPKT0_PS4_S4_.uses_vcc, 1
	.set _Z6kernelI9broadcastN15benchmark_utils11custom_typeIidEELj62ELj31ELj100EEvPKT0_PS4_S4_.uses_flat_scratch, 0
	.set _Z6kernelI9broadcastN15benchmark_utils11custom_typeIidEELj62ELj31ELj100EEvPKT0_PS4_S4_.has_dyn_sized_stack, 0
	.set _Z6kernelI9broadcastN15benchmark_utils11custom_typeIidEELj62ELj31ELj100EEvPKT0_PS4_S4_.has_recursion, 0
	.set _Z6kernelI9broadcastN15benchmark_utils11custom_typeIidEELj62ELj31ELj100EEvPKT0_PS4_S4_.has_indirect_call, 0
	.section	.AMDGPU.csdata,"",@progbits
; Kernel info:
; codeLenInByte = 244
; TotalNumSgprs: 12
; NumVgprs: 8
; ScratchSize: 0
; MemoryBound: 0
; FloatMode: 240
; IeeeMode: 1
; LDSByteSize: 496 bytes/workgroup (compile time only)
; SGPRBlocks: 1
; VGPRBlocks: 1
; NumSGPRsForWavesPerEU: 12
; NumVGPRsForWavesPerEU: 8
; Occupancy: 10
; WaveLimiterHint : 0
; COMPUTE_PGM_RSRC2:SCRATCH_EN: 0
; COMPUTE_PGM_RSRC2:USER_SGPR: 6
; COMPUTE_PGM_RSRC2:TRAP_HANDLER: 0
; COMPUTE_PGM_RSRC2:TGID_X_EN: 1
; COMPUTE_PGM_RSRC2:TGID_Y_EN: 0
; COMPUTE_PGM_RSRC2:TGID_Z_EN: 0
; COMPUTE_PGM_RSRC2:TIDIG_COMP_CNT: 0
	.section	.text._Z6kernelI9broadcastN15benchmark_utils11custom_typeIidEELj256ELj32ELj100EEvPKT0_PS4_S4_,"axG",@progbits,_Z6kernelI9broadcastN15benchmark_utils11custom_typeIidEELj256ELj32ELj100EEvPKT0_PS4_S4_,comdat
	.protected	_Z6kernelI9broadcastN15benchmark_utils11custom_typeIidEELj256ELj32ELj100EEvPKT0_PS4_S4_ ; -- Begin function _Z6kernelI9broadcastN15benchmark_utils11custom_typeIidEELj256ELj32ELj100EEvPKT0_PS4_S4_
	.globl	_Z6kernelI9broadcastN15benchmark_utils11custom_typeIidEELj256ELj32ELj100EEvPKT0_PS4_S4_
	.p2align	8
	.type	_Z6kernelI9broadcastN15benchmark_utils11custom_typeIidEELj256ELj32ELj100EEvPKT0_PS4_S4_,@function
_Z6kernelI9broadcastN15benchmark_utils11custom_typeIidEELj256ELj32ELj100EEvPKT0_PS4_S4_: ; @_Z6kernelI9broadcastN15benchmark_utils11custom_typeIidEELj256ELj32ELj100EEvPKT0_PS4_S4_
; %bb.0:
	s_load_dword s7, s[4:5], 0x2c
	s_load_dwordx4 s[0:3], s[4:5], 0x0
	v_mov_b32_e32 v1, 0
	s_waitcnt lgkmcnt(0)
	s_and_b32 s4, s7, 0xffff
	s_mul_i32 s6, s6, s4
	v_add_u32_e32 v0, s6, v0
	v_lshlrev_b64 v[0:1], 4, v[0:1]
	v_mov_b32_e32 v2, s1
	v_add_co_u32_e32 v5, vcc, s0, v0
	v_addc_co_u32_e32 v6, vcc, v2, v1, vcc
	global_load_dword v4, v[5:6], off
	global_load_dwordx2 v[2:3], v[5:6], off offset:8
	v_mbcnt_lo_u32_b32 v5, -1, 0
	v_mbcnt_hi_u32_b32 v5, -1, v5
	v_lshlrev_b32_e32 v5, 2, v5
	v_and_b32_e32 v5, 0x180, v5
	s_movk_i32 s0, 0x64
.LBB139_1:                              ; =>This Inner Loop Header: Depth=1
	s_waitcnt vmcnt(1) lgkmcnt(2)
	ds_bpermute_b32 v4, v5, v4
	s_waitcnt vmcnt(0) lgkmcnt(2)
	ds_bpermute_b32 v2, v5, v2
	s_waitcnt lgkmcnt(2)
	ds_bpermute_b32 v3, v5, v3
	s_add_i32 s0, s0, -1
	s_cmp_lg_u32 s0, 0
	s_cbranch_scc1 .LBB139_1
; %bb.2:
	v_mov_b32_e32 v5, s3
	v_add_co_u32_e32 v0, vcc, s2, v0
	v_addc_co_u32_e32 v1, vcc, v5, v1, vcc
	s_waitcnt lgkmcnt(2)
	global_store_dword v[0:1], v4, off
	s_waitcnt lgkmcnt(0)
	global_store_dwordx2 v[0:1], v[2:3], off offset:8
	s_endpgm
	.section	.rodata,"a",@progbits
	.p2align	6, 0x0
	.amdhsa_kernel _Z6kernelI9broadcastN15benchmark_utils11custom_typeIidEELj256ELj32ELj100EEvPKT0_PS4_S4_
		.amdhsa_group_segment_fixed_size 0
		.amdhsa_private_segment_fixed_size 0
		.amdhsa_kernarg_size 288
		.amdhsa_user_sgpr_count 6
		.amdhsa_user_sgpr_private_segment_buffer 1
		.amdhsa_user_sgpr_dispatch_ptr 0
		.amdhsa_user_sgpr_queue_ptr 0
		.amdhsa_user_sgpr_kernarg_segment_ptr 1
		.amdhsa_user_sgpr_dispatch_id 0
		.amdhsa_user_sgpr_flat_scratch_init 0
		.amdhsa_user_sgpr_private_segment_size 0
		.amdhsa_uses_dynamic_stack 0
		.amdhsa_system_sgpr_private_segment_wavefront_offset 0
		.amdhsa_system_sgpr_workgroup_id_x 1
		.amdhsa_system_sgpr_workgroup_id_y 0
		.amdhsa_system_sgpr_workgroup_id_z 0
		.amdhsa_system_sgpr_workgroup_info 0
		.amdhsa_system_vgpr_workitem_id 0
		.amdhsa_next_free_vgpr 7
		.amdhsa_next_free_sgpr 8
		.amdhsa_reserve_vcc 1
		.amdhsa_reserve_flat_scratch 0
		.amdhsa_float_round_mode_32 0
		.amdhsa_float_round_mode_16_64 0
		.amdhsa_float_denorm_mode_32 3
		.amdhsa_float_denorm_mode_16_64 3
		.amdhsa_dx10_clamp 1
		.amdhsa_ieee_mode 1
		.amdhsa_fp16_overflow 0
		.amdhsa_exception_fp_ieee_invalid_op 0
		.amdhsa_exception_fp_denorm_src 0
		.amdhsa_exception_fp_ieee_div_zero 0
		.amdhsa_exception_fp_ieee_overflow 0
		.amdhsa_exception_fp_ieee_underflow 0
		.amdhsa_exception_fp_ieee_inexact 0
		.amdhsa_exception_int_div_zero 0
	.end_amdhsa_kernel
	.section	.text._Z6kernelI9broadcastN15benchmark_utils11custom_typeIidEELj256ELj32ELj100EEvPKT0_PS4_S4_,"axG",@progbits,_Z6kernelI9broadcastN15benchmark_utils11custom_typeIidEELj256ELj32ELj100EEvPKT0_PS4_S4_,comdat
.Lfunc_end139:
	.size	_Z6kernelI9broadcastN15benchmark_utils11custom_typeIidEELj256ELj32ELj100EEvPKT0_PS4_S4_, .Lfunc_end139-_Z6kernelI9broadcastN15benchmark_utils11custom_typeIidEELj256ELj32ELj100EEvPKT0_PS4_S4_
                                        ; -- End function
	.set _Z6kernelI9broadcastN15benchmark_utils11custom_typeIidEELj256ELj32ELj100EEvPKT0_PS4_S4_.num_vgpr, 7
	.set _Z6kernelI9broadcastN15benchmark_utils11custom_typeIidEELj256ELj32ELj100EEvPKT0_PS4_S4_.num_agpr, 0
	.set _Z6kernelI9broadcastN15benchmark_utils11custom_typeIidEELj256ELj32ELj100EEvPKT0_PS4_S4_.numbered_sgpr, 8
	.set _Z6kernelI9broadcastN15benchmark_utils11custom_typeIidEELj256ELj32ELj100EEvPKT0_PS4_S4_.num_named_barrier, 0
	.set _Z6kernelI9broadcastN15benchmark_utils11custom_typeIidEELj256ELj32ELj100EEvPKT0_PS4_S4_.private_seg_size, 0
	.set _Z6kernelI9broadcastN15benchmark_utils11custom_typeIidEELj256ELj32ELj100EEvPKT0_PS4_S4_.uses_vcc, 1
	.set _Z6kernelI9broadcastN15benchmark_utils11custom_typeIidEELj256ELj32ELj100EEvPKT0_PS4_S4_.uses_flat_scratch, 0
	.set _Z6kernelI9broadcastN15benchmark_utils11custom_typeIidEELj256ELj32ELj100EEvPKT0_PS4_S4_.has_dyn_sized_stack, 0
	.set _Z6kernelI9broadcastN15benchmark_utils11custom_typeIidEELj256ELj32ELj100EEvPKT0_PS4_S4_.has_recursion, 0
	.set _Z6kernelI9broadcastN15benchmark_utils11custom_typeIidEELj256ELj32ELj100EEvPKT0_PS4_S4_.has_indirect_call, 0
	.section	.AMDGPU.csdata,"",@progbits
; Kernel info:
; codeLenInByte = 196
; TotalNumSgprs: 12
; NumVgprs: 7
; ScratchSize: 0
; MemoryBound: 0
; FloatMode: 240
; IeeeMode: 1
; LDSByteSize: 0 bytes/workgroup (compile time only)
; SGPRBlocks: 1
; VGPRBlocks: 1
; NumSGPRsForWavesPerEU: 12
; NumVGPRsForWavesPerEU: 7
; Occupancy: 10
; WaveLimiterHint : 0
; COMPUTE_PGM_RSRC2:SCRATCH_EN: 0
; COMPUTE_PGM_RSRC2:USER_SGPR: 6
; COMPUTE_PGM_RSRC2:TRAP_HANDLER: 0
; COMPUTE_PGM_RSRC2:TGID_X_EN: 1
; COMPUTE_PGM_RSRC2:TGID_Y_EN: 0
; COMPUTE_PGM_RSRC2:TGID_Z_EN: 0
; COMPUTE_PGM_RSRC2:TIDIG_COMP_CNT: 0
	.section	.text._Z6kernelI9broadcastN15benchmark_utils11custom_typeIidEELj63ELj63ELj100EEvPKT0_PS4_S4_,"axG",@progbits,_Z6kernelI9broadcastN15benchmark_utils11custom_typeIidEELj63ELj63ELj100EEvPKT0_PS4_S4_,comdat
	.protected	_Z6kernelI9broadcastN15benchmark_utils11custom_typeIidEELj63ELj63ELj100EEvPKT0_PS4_S4_ ; -- Begin function _Z6kernelI9broadcastN15benchmark_utils11custom_typeIidEELj63ELj63ELj100EEvPKT0_PS4_S4_
	.globl	_Z6kernelI9broadcastN15benchmark_utils11custom_typeIidEELj63ELj63ELj100EEvPKT0_PS4_S4_
	.p2align	8
	.type	_Z6kernelI9broadcastN15benchmark_utils11custom_typeIidEELj63ELj63ELj100EEvPKT0_PS4_S4_,@function
_Z6kernelI9broadcastN15benchmark_utils11custom_typeIidEELj63ELj63ELj100EEvPKT0_PS4_S4_: ; @_Z6kernelI9broadcastN15benchmark_utils11custom_typeIidEELj63ELj63ELj100EEvPKT0_PS4_S4_
; %bb.0:
	s_load_dword s7, s[4:5], 0x2c
	s_load_dwordx4 s[0:3], s[4:5], 0x0
	v_mov_b32_e32 v1, 0
	s_waitcnt lgkmcnt(0)
	s_and_b32 s4, s7, 0xffff
	s_mul_i32 s6, s6, s4
	v_add_u32_e32 v0, s6, v0
	v_lshlrev_b64 v[2:3], 4, v[0:1]
	v_mov_b32_e32 v0, s1
	v_add_co_u32_e32 v6, vcc, s0, v2
	v_addc_co_u32_e32 v7, vcc, v0, v3, vcc
	global_load_dwordx2 v[4:5], v[6:7], off offset:8
	global_load_dword v0, v[6:7], off
	v_mbcnt_lo_u32_b32 v6, -1, 0
	v_mbcnt_hi_u32_b32 v6, -1, v6
	s_mov_b32 s0, 0xbefbefbf
	v_mul_lo_u32 v6, v6, s0
	s_mov_b32 s0, 0x4104105
	s_movk_i32 s4, 0x64
	v_cmp_gt_u32_e32 vcc, s0, v6
	s_branch .LBB140_2
.LBB140_1:                              ;   in Loop: Header=BB140_2 Depth=1
	s_or_b64 exec, exec, s[0:1]
	; wave barrier
	s_waitcnt vmcnt(0) lgkmcnt(1)
	ds_read_b32 v0, v1
	s_waitcnt lgkmcnt(1)
	ds_read_b64 v[4:5], v1 offset:8
	s_add_i32 s4, s4, -1
	s_cmp_lg_u32 s4, 0
	s_cbranch_scc0 .LBB140_4
.LBB140_2:                              ; =>This Inner Loop Header: Depth=1
	s_and_saveexec_b64 s[0:1], vcc
	s_cbranch_execz .LBB140_1
; %bb.3:                                ;   in Loop: Header=BB140_2 Depth=1
	s_waitcnt vmcnt(0) lgkmcnt(1)
	ds_write_b32 v1, v0
	s_waitcnt lgkmcnt(1)
	ds_write_b64 v1, v[4:5] offset:8
	s_branch .LBB140_1
.LBB140_4:
	v_mov_b32_e32 v6, s3
	v_add_co_u32_e32 v1, vcc, s2, v2
	v_addc_co_u32_e32 v2, vcc, v6, v3, vcc
	s_waitcnt lgkmcnt(1)
	global_store_dword v[1:2], v0, off
	s_waitcnt lgkmcnt(0)
	global_store_dwordx2 v[1:2], v[4:5], off offset:8
	s_endpgm
	.section	.rodata,"a",@progbits
	.p2align	6, 0x0
	.amdhsa_kernel _Z6kernelI9broadcastN15benchmark_utils11custom_typeIidEELj63ELj63ELj100EEvPKT0_PS4_S4_
		.amdhsa_group_segment_fixed_size 1008
		.amdhsa_private_segment_fixed_size 0
		.amdhsa_kernarg_size 288
		.amdhsa_user_sgpr_count 6
		.amdhsa_user_sgpr_private_segment_buffer 1
		.amdhsa_user_sgpr_dispatch_ptr 0
		.amdhsa_user_sgpr_queue_ptr 0
		.amdhsa_user_sgpr_kernarg_segment_ptr 1
		.amdhsa_user_sgpr_dispatch_id 0
		.amdhsa_user_sgpr_flat_scratch_init 0
		.amdhsa_user_sgpr_private_segment_size 0
		.amdhsa_uses_dynamic_stack 0
		.amdhsa_system_sgpr_private_segment_wavefront_offset 0
		.amdhsa_system_sgpr_workgroup_id_x 1
		.amdhsa_system_sgpr_workgroup_id_y 0
		.amdhsa_system_sgpr_workgroup_id_z 0
		.amdhsa_system_sgpr_workgroup_info 0
		.amdhsa_system_vgpr_workitem_id 0
		.amdhsa_next_free_vgpr 8
		.amdhsa_next_free_sgpr 8
		.amdhsa_reserve_vcc 1
		.amdhsa_reserve_flat_scratch 0
		.amdhsa_float_round_mode_32 0
		.amdhsa_float_round_mode_16_64 0
		.amdhsa_float_denorm_mode_32 3
		.amdhsa_float_denorm_mode_16_64 3
		.amdhsa_dx10_clamp 1
		.amdhsa_ieee_mode 1
		.amdhsa_fp16_overflow 0
		.amdhsa_exception_fp_ieee_invalid_op 0
		.amdhsa_exception_fp_denorm_src 0
		.amdhsa_exception_fp_ieee_div_zero 0
		.amdhsa_exception_fp_ieee_overflow 0
		.amdhsa_exception_fp_ieee_underflow 0
		.amdhsa_exception_fp_ieee_inexact 0
		.amdhsa_exception_int_div_zero 0
	.end_amdhsa_kernel
	.section	.text._Z6kernelI9broadcastN15benchmark_utils11custom_typeIidEELj63ELj63ELj100EEvPKT0_PS4_S4_,"axG",@progbits,_Z6kernelI9broadcastN15benchmark_utils11custom_typeIidEELj63ELj63ELj100EEvPKT0_PS4_S4_,comdat
.Lfunc_end140:
	.size	_Z6kernelI9broadcastN15benchmark_utils11custom_typeIidEELj63ELj63ELj100EEvPKT0_PS4_S4_, .Lfunc_end140-_Z6kernelI9broadcastN15benchmark_utils11custom_typeIidEELj63ELj63ELj100EEvPKT0_PS4_S4_
                                        ; -- End function
	.set _Z6kernelI9broadcastN15benchmark_utils11custom_typeIidEELj63ELj63ELj100EEvPKT0_PS4_S4_.num_vgpr, 8
	.set _Z6kernelI9broadcastN15benchmark_utils11custom_typeIidEELj63ELj63ELj100EEvPKT0_PS4_S4_.num_agpr, 0
	.set _Z6kernelI9broadcastN15benchmark_utils11custom_typeIidEELj63ELj63ELj100EEvPKT0_PS4_S4_.numbered_sgpr, 8
	.set _Z6kernelI9broadcastN15benchmark_utils11custom_typeIidEELj63ELj63ELj100EEvPKT0_PS4_S4_.num_named_barrier, 0
	.set _Z6kernelI9broadcastN15benchmark_utils11custom_typeIidEELj63ELj63ELj100EEvPKT0_PS4_S4_.private_seg_size, 0
	.set _Z6kernelI9broadcastN15benchmark_utils11custom_typeIidEELj63ELj63ELj100EEvPKT0_PS4_S4_.uses_vcc, 1
	.set _Z6kernelI9broadcastN15benchmark_utils11custom_typeIidEELj63ELj63ELj100EEvPKT0_PS4_S4_.uses_flat_scratch, 0
	.set _Z6kernelI9broadcastN15benchmark_utils11custom_typeIidEELj63ELj63ELj100EEvPKT0_PS4_S4_.has_dyn_sized_stack, 0
	.set _Z6kernelI9broadcastN15benchmark_utils11custom_typeIidEELj63ELj63ELj100EEvPKT0_PS4_S4_.has_recursion, 0
	.set _Z6kernelI9broadcastN15benchmark_utils11custom_typeIidEELj63ELj63ELj100EEvPKT0_PS4_S4_.has_indirect_call, 0
	.section	.AMDGPU.csdata,"",@progbits
; Kernel info:
; codeLenInByte = 244
; TotalNumSgprs: 12
; NumVgprs: 8
; ScratchSize: 0
; MemoryBound: 0
; FloatMode: 240
; IeeeMode: 1
; LDSByteSize: 1008 bytes/workgroup (compile time only)
; SGPRBlocks: 1
; VGPRBlocks: 1
; NumSGPRsForWavesPerEU: 12
; NumVGPRsForWavesPerEU: 8
; Occupancy: 10
; WaveLimiterHint : 0
; COMPUTE_PGM_RSRC2:SCRATCH_EN: 0
; COMPUTE_PGM_RSRC2:USER_SGPR: 6
; COMPUTE_PGM_RSRC2:TRAP_HANDLER: 0
; COMPUTE_PGM_RSRC2:TGID_X_EN: 1
; COMPUTE_PGM_RSRC2:TGID_Y_EN: 0
; COMPUTE_PGM_RSRC2:TGID_Z_EN: 0
; COMPUTE_PGM_RSRC2:TIDIG_COMP_CNT: 0
	.section	.text._Z6kernelI9broadcastN15benchmark_utils11custom_typeIidEELj64ELj64ELj100EEvPKT0_PS4_S4_,"axG",@progbits,_Z6kernelI9broadcastN15benchmark_utils11custom_typeIidEELj64ELj64ELj100EEvPKT0_PS4_S4_,comdat
	.protected	_Z6kernelI9broadcastN15benchmark_utils11custom_typeIidEELj64ELj64ELj100EEvPKT0_PS4_S4_ ; -- Begin function _Z6kernelI9broadcastN15benchmark_utils11custom_typeIidEELj64ELj64ELj100EEvPKT0_PS4_S4_
	.globl	_Z6kernelI9broadcastN15benchmark_utils11custom_typeIidEELj64ELj64ELj100EEvPKT0_PS4_S4_
	.p2align	8
	.type	_Z6kernelI9broadcastN15benchmark_utils11custom_typeIidEELj64ELj64ELj100EEvPKT0_PS4_S4_,@function
_Z6kernelI9broadcastN15benchmark_utils11custom_typeIidEELj64ELj64ELj100EEvPKT0_PS4_S4_: ; @_Z6kernelI9broadcastN15benchmark_utils11custom_typeIidEELj64ELj64ELj100EEvPKT0_PS4_S4_
; %bb.0:
	s_load_dword s7, s[4:5], 0x2c
	s_load_dwordx4 s[0:3], s[4:5], 0x0
	v_mov_b32_e32 v1, 0
	s_waitcnt lgkmcnt(0)
	s_and_b32 s4, s7, 0xffff
	s_mul_i32 s6, s6, s4
	v_add_u32_e32 v0, s6, v0
	v_lshlrev_b64 v[0:1], 4, v[0:1]
	v_mov_b32_e32 v2, s1
	v_add_co_u32_e32 v5, vcc, s0, v0
	v_addc_co_u32_e32 v6, vcc, v2, v1, vcc
	global_load_dword v4, v[5:6], off
	global_load_dwordx2 v[2:3], v[5:6], off offset:8
	v_mbcnt_lo_u32_b32 v5, -1, 0
	v_mbcnt_hi_u32_b32 v5, -1, v5
	v_lshlrev_b32_e32 v5, 2, v5
	v_and_b32_e32 v5, 0x100, v5
	s_movk_i32 s0, 0x64
.LBB141_1:                              ; =>This Inner Loop Header: Depth=1
	s_waitcnt vmcnt(1) lgkmcnt(2)
	ds_bpermute_b32 v4, v5, v4
	s_waitcnt vmcnt(0) lgkmcnt(2)
	ds_bpermute_b32 v2, v5, v2
	s_waitcnt lgkmcnt(2)
	ds_bpermute_b32 v3, v5, v3
	s_add_i32 s0, s0, -1
	s_cmp_lg_u32 s0, 0
	s_cbranch_scc1 .LBB141_1
; %bb.2:
	v_mov_b32_e32 v5, s3
	v_add_co_u32_e32 v0, vcc, s2, v0
	v_addc_co_u32_e32 v1, vcc, v5, v1, vcc
	s_waitcnt lgkmcnt(2)
	global_store_dword v[0:1], v4, off
	s_waitcnt lgkmcnt(0)
	global_store_dwordx2 v[0:1], v[2:3], off offset:8
	s_endpgm
	.section	.rodata,"a",@progbits
	.p2align	6, 0x0
	.amdhsa_kernel _Z6kernelI9broadcastN15benchmark_utils11custom_typeIidEELj64ELj64ELj100EEvPKT0_PS4_S4_
		.amdhsa_group_segment_fixed_size 0
		.amdhsa_private_segment_fixed_size 0
		.amdhsa_kernarg_size 288
		.amdhsa_user_sgpr_count 6
		.amdhsa_user_sgpr_private_segment_buffer 1
		.amdhsa_user_sgpr_dispatch_ptr 0
		.amdhsa_user_sgpr_queue_ptr 0
		.amdhsa_user_sgpr_kernarg_segment_ptr 1
		.amdhsa_user_sgpr_dispatch_id 0
		.amdhsa_user_sgpr_flat_scratch_init 0
		.amdhsa_user_sgpr_private_segment_size 0
		.amdhsa_uses_dynamic_stack 0
		.amdhsa_system_sgpr_private_segment_wavefront_offset 0
		.amdhsa_system_sgpr_workgroup_id_x 1
		.amdhsa_system_sgpr_workgroup_id_y 0
		.amdhsa_system_sgpr_workgroup_id_z 0
		.amdhsa_system_sgpr_workgroup_info 0
		.amdhsa_system_vgpr_workitem_id 0
		.amdhsa_next_free_vgpr 7
		.amdhsa_next_free_sgpr 8
		.amdhsa_reserve_vcc 1
		.amdhsa_reserve_flat_scratch 0
		.amdhsa_float_round_mode_32 0
		.amdhsa_float_round_mode_16_64 0
		.amdhsa_float_denorm_mode_32 3
		.amdhsa_float_denorm_mode_16_64 3
		.amdhsa_dx10_clamp 1
		.amdhsa_ieee_mode 1
		.amdhsa_fp16_overflow 0
		.amdhsa_exception_fp_ieee_invalid_op 0
		.amdhsa_exception_fp_denorm_src 0
		.amdhsa_exception_fp_ieee_div_zero 0
		.amdhsa_exception_fp_ieee_overflow 0
		.amdhsa_exception_fp_ieee_underflow 0
		.amdhsa_exception_fp_ieee_inexact 0
		.amdhsa_exception_int_div_zero 0
	.end_amdhsa_kernel
	.section	.text._Z6kernelI9broadcastN15benchmark_utils11custom_typeIidEELj64ELj64ELj100EEvPKT0_PS4_S4_,"axG",@progbits,_Z6kernelI9broadcastN15benchmark_utils11custom_typeIidEELj64ELj64ELj100EEvPKT0_PS4_S4_,comdat
.Lfunc_end141:
	.size	_Z6kernelI9broadcastN15benchmark_utils11custom_typeIidEELj64ELj64ELj100EEvPKT0_PS4_S4_, .Lfunc_end141-_Z6kernelI9broadcastN15benchmark_utils11custom_typeIidEELj64ELj64ELj100EEvPKT0_PS4_S4_
                                        ; -- End function
	.set _Z6kernelI9broadcastN15benchmark_utils11custom_typeIidEELj64ELj64ELj100EEvPKT0_PS4_S4_.num_vgpr, 7
	.set _Z6kernelI9broadcastN15benchmark_utils11custom_typeIidEELj64ELj64ELj100EEvPKT0_PS4_S4_.num_agpr, 0
	.set _Z6kernelI9broadcastN15benchmark_utils11custom_typeIidEELj64ELj64ELj100EEvPKT0_PS4_S4_.numbered_sgpr, 8
	.set _Z6kernelI9broadcastN15benchmark_utils11custom_typeIidEELj64ELj64ELj100EEvPKT0_PS4_S4_.num_named_barrier, 0
	.set _Z6kernelI9broadcastN15benchmark_utils11custom_typeIidEELj64ELj64ELj100EEvPKT0_PS4_S4_.private_seg_size, 0
	.set _Z6kernelI9broadcastN15benchmark_utils11custom_typeIidEELj64ELj64ELj100EEvPKT0_PS4_S4_.uses_vcc, 1
	.set _Z6kernelI9broadcastN15benchmark_utils11custom_typeIidEELj64ELj64ELj100EEvPKT0_PS4_S4_.uses_flat_scratch, 0
	.set _Z6kernelI9broadcastN15benchmark_utils11custom_typeIidEELj64ELj64ELj100EEvPKT0_PS4_S4_.has_dyn_sized_stack, 0
	.set _Z6kernelI9broadcastN15benchmark_utils11custom_typeIidEELj64ELj64ELj100EEvPKT0_PS4_S4_.has_recursion, 0
	.set _Z6kernelI9broadcastN15benchmark_utils11custom_typeIidEELj64ELj64ELj100EEvPKT0_PS4_S4_.has_indirect_call, 0
	.section	.AMDGPU.csdata,"",@progbits
; Kernel info:
; codeLenInByte = 196
; TotalNumSgprs: 12
; NumVgprs: 7
; ScratchSize: 0
; MemoryBound: 0
; FloatMode: 240
; IeeeMode: 1
; LDSByteSize: 0 bytes/workgroup (compile time only)
; SGPRBlocks: 1
; VGPRBlocks: 1
; NumSGPRsForWavesPerEU: 12
; NumVGPRsForWavesPerEU: 7
; Occupancy: 10
; WaveLimiterHint : 0
; COMPUTE_PGM_RSRC2:SCRATCH_EN: 0
; COMPUTE_PGM_RSRC2:USER_SGPR: 6
; COMPUTE_PGM_RSRC2:TRAP_HANDLER: 0
; COMPUTE_PGM_RSRC2:TGID_X_EN: 1
; COMPUTE_PGM_RSRC2:TGID_Y_EN: 0
; COMPUTE_PGM_RSRC2:TGID_Z_EN: 0
; COMPUTE_PGM_RSRC2:TIDIG_COMP_CNT: 0
	.section	.text._Z6kernelI9broadcastN15benchmark_utils11custom_typeIidEELj128ELj64ELj100EEvPKT0_PS4_S4_,"axG",@progbits,_Z6kernelI9broadcastN15benchmark_utils11custom_typeIidEELj128ELj64ELj100EEvPKT0_PS4_S4_,comdat
	.protected	_Z6kernelI9broadcastN15benchmark_utils11custom_typeIidEELj128ELj64ELj100EEvPKT0_PS4_S4_ ; -- Begin function _Z6kernelI9broadcastN15benchmark_utils11custom_typeIidEELj128ELj64ELj100EEvPKT0_PS4_S4_
	.globl	_Z6kernelI9broadcastN15benchmark_utils11custom_typeIidEELj128ELj64ELj100EEvPKT0_PS4_S4_
	.p2align	8
	.type	_Z6kernelI9broadcastN15benchmark_utils11custom_typeIidEELj128ELj64ELj100EEvPKT0_PS4_S4_,@function
_Z6kernelI9broadcastN15benchmark_utils11custom_typeIidEELj128ELj64ELj100EEvPKT0_PS4_S4_: ; @_Z6kernelI9broadcastN15benchmark_utils11custom_typeIidEELj128ELj64ELj100EEvPKT0_PS4_S4_
; %bb.0:
	s_load_dword s7, s[4:5], 0x2c
	s_load_dwordx4 s[0:3], s[4:5], 0x0
	v_mov_b32_e32 v1, 0
	s_waitcnt lgkmcnt(0)
	s_and_b32 s4, s7, 0xffff
	s_mul_i32 s6, s6, s4
	v_add_u32_e32 v0, s6, v0
	v_lshlrev_b64 v[0:1], 4, v[0:1]
	v_mov_b32_e32 v2, s1
	v_add_co_u32_e32 v5, vcc, s0, v0
	v_addc_co_u32_e32 v6, vcc, v2, v1, vcc
	global_load_dword v4, v[5:6], off
	global_load_dwordx2 v[2:3], v[5:6], off offset:8
	v_mbcnt_lo_u32_b32 v5, -1, 0
	v_mbcnt_hi_u32_b32 v5, -1, v5
	v_lshlrev_b32_e32 v5, 2, v5
	v_and_b32_e32 v5, 0x100, v5
	s_movk_i32 s0, 0x64
.LBB142_1:                              ; =>This Inner Loop Header: Depth=1
	s_waitcnt vmcnt(1) lgkmcnt(2)
	ds_bpermute_b32 v4, v5, v4
	s_waitcnt vmcnt(0) lgkmcnt(2)
	ds_bpermute_b32 v2, v5, v2
	s_waitcnt lgkmcnt(2)
	ds_bpermute_b32 v3, v5, v3
	s_add_i32 s0, s0, -1
	s_cmp_lg_u32 s0, 0
	s_cbranch_scc1 .LBB142_1
; %bb.2:
	v_mov_b32_e32 v5, s3
	v_add_co_u32_e32 v0, vcc, s2, v0
	v_addc_co_u32_e32 v1, vcc, v5, v1, vcc
	s_waitcnt lgkmcnt(2)
	global_store_dword v[0:1], v4, off
	s_waitcnt lgkmcnt(0)
	global_store_dwordx2 v[0:1], v[2:3], off offset:8
	s_endpgm
	.section	.rodata,"a",@progbits
	.p2align	6, 0x0
	.amdhsa_kernel _Z6kernelI9broadcastN15benchmark_utils11custom_typeIidEELj128ELj64ELj100EEvPKT0_PS4_S4_
		.amdhsa_group_segment_fixed_size 0
		.amdhsa_private_segment_fixed_size 0
		.amdhsa_kernarg_size 288
		.amdhsa_user_sgpr_count 6
		.amdhsa_user_sgpr_private_segment_buffer 1
		.amdhsa_user_sgpr_dispatch_ptr 0
		.amdhsa_user_sgpr_queue_ptr 0
		.amdhsa_user_sgpr_kernarg_segment_ptr 1
		.amdhsa_user_sgpr_dispatch_id 0
		.amdhsa_user_sgpr_flat_scratch_init 0
		.amdhsa_user_sgpr_private_segment_size 0
		.amdhsa_uses_dynamic_stack 0
		.amdhsa_system_sgpr_private_segment_wavefront_offset 0
		.amdhsa_system_sgpr_workgroup_id_x 1
		.amdhsa_system_sgpr_workgroup_id_y 0
		.amdhsa_system_sgpr_workgroup_id_z 0
		.amdhsa_system_sgpr_workgroup_info 0
		.amdhsa_system_vgpr_workitem_id 0
		.amdhsa_next_free_vgpr 7
		.amdhsa_next_free_sgpr 8
		.amdhsa_reserve_vcc 1
		.amdhsa_reserve_flat_scratch 0
		.amdhsa_float_round_mode_32 0
		.amdhsa_float_round_mode_16_64 0
		.amdhsa_float_denorm_mode_32 3
		.amdhsa_float_denorm_mode_16_64 3
		.amdhsa_dx10_clamp 1
		.amdhsa_ieee_mode 1
		.amdhsa_fp16_overflow 0
		.amdhsa_exception_fp_ieee_invalid_op 0
		.amdhsa_exception_fp_denorm_src 0
		.amdhsa_exception_fp_ieee_div_zero 0
		.amdhsa_exception_fp_ieee_overflow 0
		.amdhsa_exception_fp_ieee_underflow 0
		.amdhsa_exception_fp_ieee_inexact 0
		.amdhsa_exception_int_div_zero 0
	.end_amdhsa_kernel
	.section	.text._Z6kernelI9broadcastN15benchmark_utils11custom_typeIidEELj128ELj64ELj100EEvPKT0_PS4_S4_,"axG",@progbits,_Z6kernelI9broadcastN15benchmark_utils11custom_typeIidEELj128ELj64ELj100EEvPKT0_PS4_S4_,comdat
.Lfunc_end142:
	.size	_Z6kernelI9broadcastN15benchmark_utils11custom_typeIidEELj128ELj64ELj100EEvPKT0_PS4_S4_, .Lfunc_end142-_Z6kernelI9broadcastN15benchmark_utils11custom_typeIidEELj128ELj64ELj100EEvPKT0_PS4_S4_
                                        ; -- End function
	.set _Z6kernelI9broadcastN15benchmark_utils11custom_typeIidEELj128ELj64ELj100EEvPKT0_PS4_S4_.num_vgpr, 7
	.set _Z6kernelI9broadcastN15benchmark_utils11custom_typeIidEELj128ELj64ELj100EEvPKT0_PS4_S4_.num_agpr, 0
	.set _Z6kernelI9broadcastN15benchmark_utils11custom_typeIidEELj128ELj64ELj100EEvPKT0_PS4_S4_.numbered_sgpr, 8
	.set _Z6kernelI9broadcastN15benchmark_utils11custom_typeIidEELj128ELj64ELj100EEvPKT0_PS4_S4_.num_named_barrier, 0
	.set _Z6kernelI9broadcastN15benchmark_utils11custom_typeIidEELj128ELj64ELj100EEvPKT0_PS4_S4_.private_seg_size, 0
	.set _Z6kernelI9broadcastN15benchmark_utils11custom_typeIidEELj128ELj64ELj100EEvPKT0_PS4_S4_.uses_vcc, 1
	.set _Z6kernelI9broadcastN15benchmark_utils11custom_typeIidEELj128ELj64ELj100EEvPKT0_PS4_S4_.uses_flat_scratch, 0
	.set _Z6kernelI9broadcastN15benchmark_utils11custom_typeIidEELj128ELj64ELj100EEvPKT0_PS4_S4_.has_dyn_sized_stack, 0
	.set _Z6kernelI9broadcastN15benchmark_utils11custom_typeIidEELj128ELj64ELj100EEvPKT0_PS4_S4_.has_recursion, 0
	.set _Z6kernelI9broadcastN15benchmark_utils11custom_typeIidEELj128ELj64ELj100EEvPKT0_PS4_S4_.has_indirect_call, 0
	.section	.AMDGPU.csdata,"",@progbits
; Kernel info:
; codeLenInByte = 196
; TotalNumSgprs: 12
; NumVgprs: 7
; ScratchSize: 0
; MemoryBound: 0
; FloatMode: 240
; IeeeMode: 1
; LDSByteSize: 0 bytes/workgroup (compile time only)
; SGPRBlocks: 1
; VGPRBlocks: 1
; NumSGPRsForWavesPerEU: 12
; NumVGPRsForWavesPerEU: 7
; Occupancy: 10
; WaveLimiterHint : 0
; COMPUTE_PGM_RSRC2:SCRATCH_EN: 0
; COMPUTE_PGM_RSRC2:USER_SGPR: 6
; COMPUTE_PGM_RSRC2:TRAP_HANDLER: 0
; COMPUTE_PGM_RSRC2:TGID_X_EN: 1
; COMPUTE_PGM_RSRC2:TGID_Y_EN: 0
; COMPUTE_PGM_RSRC2:TGID_Z_EN: 0
; COMPUTE_PGM_RSRC2:TIDIG_COMP_CNT: 0
	.section	.text._Z6kernelI9broadcastN15benchmark_utils11custom_typeIidEELj256ELj64ELj100EEvPKT0_PS4_S4_,"axG",@progbits,_Z6kernelI9broadcastN15benchmark_utils11custom_typeIidEELj256ELj64ELj100EEvPKT0_PS4_S4_,comdat
	.protected	_Z6kernelI9broadcastN15benchmark_utils11custom_typeIidEELj256ELj64ELj100EEvPKT0_PS4_S4_ ; -- Begin function _Z6kernelI9broadcastN15benchmark_utils11custom_typeIidEELj256ELj64ELj100EEvPKT0_PS4_S4_
	.globl	_Z6kernelI9broadcastN15benchmark_utils11custom_typeIidEELj256ELj64ELj100EEvPKT0_PS4_S4_
	.p2align	8
	.type	_Z6kernelI9broadcastN15benchmark_utils11custom_typeIidEELj256ELj64ELj100EEvPKT0_PS4_S4_,@function
_Z6kernelI9broadcastN15benchmark_utils11custom_typeIidEELj256ELj64ELj100EEvPKT0_PS4_S4_: ; @_Z6kernelI9broadcastN15benchmark_utils11custom_typeIidEELj256ELj64ELj100EEvPKT0_PS4_S4_
; %bb.0:
	s_load_dword s7, s[4:5], 0x2c
	s_load_dwordx4 s[0:3], s[4:5], 0x0
	v_mov_b32_e32 v1, 0
	s_waitcnt lgkmcnt(0)
	s_and_b32 s4, s7, 0xffff
	s_mul_i32 s6, s6, s4
	v_add_u32_e32 v0, s6, v0
	v_lshlrev_b64 v[0:1], 4, v[0:1]
	v_mov_b32_e32 v2, s1
	v_add_co_u32_e32 v5, vcc, s0, v0
	v_addc_co_u32_e32 v6, vcc, v2, v1, vcc
	global_load_dword v4, v[5:6], off
	global_load_dwordx2 v[2:3], v[5:6], off offset:8
	v_mbcnt_lo_u32_b32 v5, -1, 0
	v_mbcnt_hi_u32_b32 v5, -1, v5
	v_lshlrev_b32_e32 v5, 2, v5
	v_and_b32_e32 v5, 0x100, v5
	s_movk_i32 s0, 0x64
.LBB143_1:                              ; =>This Inner Loop Header: Depth=1
	s_waitcnt vmcnt(1) lgkmcnt(2)
	ds_bpermute_b32 v4, v5, v4
	s_waitcnt vmcnt(0) lgkmcnt(2)
	ds_bpermute_b32 v2, v5, v2
	s_waitcnt lgkmcnt(2)
	ds_bpermute_b32 v3, v5, v3
	s_add_i32 s0, s0, -1
	s_cmp_lg_u32 s0, 0
	s_cbranch_scc1 .LBB143_1
; %bb.2:
	v_mov_b32_e32 v5, s3
	v_add_co_u32_e32 v0, vcc, s2, v0
	v_addc_co_u32_e32 v1, vcc, v5, v1, vcc
	s_waitcnt lgkmcnt(2)
	global_store_dword v[0:1], v4, off
	s_waitcnt lgkmcnt(0)
	global_store_dwordx2 v[0:1], v[2:3], off offset:8
	s_endpgm
	.section	.rodata,"a",@progbits
	.p2align	6, 0x0
	.amdhsa_kernel _Z6kernelI9broadcastN15benchmark_utils11custom_typeIidEELj256ELj64ELj100EEvPKT0_PS4_S4_
		.amdhsa_group_segment_fixed_size 0
		.amdhsa_private_segment_fixed_size 0
		.amdhsa_kernarg_size 288
		.amdhsa_user_sgpr_count 6
		.amdhsa_user_sgpr_private_segment_buffer 1
		.amdhsa_user_sgpr_dispatch_ptr 0
		.amdhsa_user_sgpr_queue_ptr 0
		.amdhsa_user_sgpr_kernarg_segment_ptr 1
		.amdhsa_user_sgpr_dispatch_id 0
		.amdhsa_user_sgpr_flat_scratch_init 0
		.amdhsa_user_sgpr_private_segment_size 0
		.amdhsa_uses_dynamic_stack 0
		.amdhsa_system_sgpr_private_segment_wavefront_offset 0
		.amdhsa_system_sgpr_workgroup_id_x 1
		.amdhsa_system_sgpr_workgroup_id_y 0
		.amdhsa_system_sgpr_workgroup_id_z 0
		.amdhsa_system_sgpr_workgroup_info 0
		.amdhsa_system_vgpr_workitem_id 0
		.amdhsa_next_free_vgpr 7
		.amdhsa_next_free_sgpr 8
		.amdhsa_reserve_vcc 1
		.amdhsa_reserve_flat_scratch 0
		.amdhsa_float_round_mode_32 0
		.amdhsa_float_round_mode_16_64 0
		.amdhsa_float_denorm_mode_32 3
		.amdhsa_float_denorm_mode_16_64 3
		.amdhsa_dx10_clamp 1
		.amdhsa_ieee_mode 1
		.amdhsa_fp16_overflow 0
		.amdhsa_exception_fp_ieee_invalid_op 0
		.amdhsa_exception_fp_denorm_src 0
		.amdhsa_exception_fp_ieee_div_zero 0
		.amdhsa_exception_fp_ieee_overflow 0
		.amdhsa_exception_fp_ieee_underflow 0
		.amdhsa_exception_fp_ieee_inexact 0
		.amdhsa_exception_int_div_zero 0
	.end_amdhsa_kernel
	.section	.text._Z6kernelI9broadcastN15benchmark_utils11custom_typeIidEELj256ELj64ELj100EEvPKT0_PS4_S4_,"axG",@progbits,_Z6kernelI9broadcastN15benchmark_utils11custom_typeIidEELj256ELj64ELj100EEvPKT0_PS4_S4_,comdat
.Lfunc_end143:
	.size	_Z6kernelI9broadcastN15benchmark_utils11custom_typeIidEELj256ELj64ELj100EEvPKT0_PS4_S4_, .Lfunc_end143-_Z6kernelI9broadcastN15benchmark_utils11custom_typeIidEELj256ELj64ELj100EEvPKT0_PS4_S4_
                                        ; -- End function
	.set _Z6kernelI9broadcastN15benchmark_utils11custom_typeIidEELj256ELj64ELj100EEvPKT0_PS4_S4_.num_vgpr, 7
	.set _Z6kernelI9broadcastN15benchmark_utils11custom_typeIidEELj256ELj64ELj100EEvPKT0_PS4_S4_.num_agpr, 0
	.set _Z6kernelI9broadcastN15benchmark_utils11custom_typeIidEELj256ELj64ELj100EEvPKT0_PS4_S4_.numbered_sgpr, 8
	.set _Z6kernelI9broadcastN15benchmark_utils11custom_typeIidEELj256ELj64ELj100EEvPKT0_PS4_S4_.num_named_barrier, 0
	.set _Z6kernelI9broadcastN15benchmark_utils11custom_typeIidEELj256ELj64ELj100EEvPKT0_PS4_S4_.private_seg_size, 0
	.set _Z6kernelI9broadcastN15benchmark_utils11custom_typeIidEELj256ELj64ELj100EEvPKT0_PS4_S4_.uses_vcc, 1
	.set _Z6kernelI9broadcastN15benchmark_utils11custom_typeIidEELj256ELj64ELj100EEvPKT0_PS4_S4_.uses_flat_scratch, 0
	.set _Z6kernelI9broadcastN15benchmark_utils11custom_typeIidEELj256ELj64ELj100EEvPKT0_PS4_S4_.has_dyn_sized_stack, 0
	.set _Z6kernelI9broadcastN15benchmark_utils11custom_typeIidEELj256ELj64ELj100EEvPKT0_PS4_S4_.has_recursion, 0
	.set _Z6kernelI9broadcastN15benchmark_utils11custom_typeIidEELj256ELj64ELj100EEvPKT0_PS4_S4_.has_indirect_call, 0
	.section	.AMDGPU.csdata,"",@progbits
; Kernel info:
; codeLenInByte = 196
; TotalNumSgprs: 12
; NumVgprs: 7
; ScratchSize: 0
; MemoryBound: 0
; FloatMode: 240
; IeeeMode: 1
; LDSByteSize: 0 bytes/workgroup (compile time only)
; SGPRBlocks: 1
; VGPRBlocks: 1
; NumSGPRsForWavesPerEU: 12
; NumVGPRsForWavesPerEU: 7
; Occupancy: 10
; WaveLimiterHint : 0
; COMPUTE_PGM_RSRC2:SCRATCH_EN: 0
; COMPUTE_PGM_RSRC2:USER_SGPR: 6
; COMPUTE_PGM_RSRC2:TRAP_HANDLER: 0
; COMPUTE_PGM_RSRC2:TGID_X_EN: 1
; COMPUTE_PGM_RSRC2:TGID_Y_EN: 0
; COMPUTE_PGM_RSRC2:TGID_Z_EN: 0
; COMPUTE_PGM_RSRC2:TIDIG_COMP_CNT: 0
	.section	.AMDGPU.gpr_maximums,"",@progbits
	.set amdgpu.max_num_vgpr, 0
	.set amdgpu.max_num_agpr, 0
	.set amdgpu.max_num_sgpr, 0
	.section	.AMDGPU.csdata,"",@progbits
	.type	__hip_cuid_359929b8c2853bef,@object ; @__hip_cuid_359929b8c2853bef
	.section	.bss,"aw",@nobits
	.globl	__hip_cuid_359929b8c2853bef
__hip_cuid_359929b8c2853bef:
	.byte	0                               ; 0x0
	.size	__hip_cuid_359929b8c2853bef, 1

	.ident	"AMD clang version 22.0.0git (https://github.com/RadeonOpenCompute/llvm-project roc-7.2.4 26084 f58b06dce1f9c15707c5f808fd002e18c2accf7e)"
	.section	".note.GNU-stack","",@progbits
	.addrsig
	.addrsig_sym __hip_cuid_359929b8c2853bef
	.amdgpu_metadata
---
amdhsa.kernels:
  - .args:
      - .address_space:  global
        .offset:         0
        .size:           8
        .value_kind:     global_buffer
      - .address_space:  global
        .offset:         8
        .size:           8
        .value_kind:     global_buffer
      - .offset:         16
        .size:           4
        .value_kind:     by_value
      - .offset:         24
        .size:           4
        .value_kind:     hidden_block_count_x
      - .offset:         28
        .size:           4
        .value_kind:     hidden_block_count_y
      - .offset:         32
        .size:           4
        .value_kind:     hidden_block_count_z
      - .offset:         36
        .size:           2
        .value_kind:     hidden_group_size_x
      - .offset:         38
        .size:           2
        .value_kind:     hidden_group_size_y
      - .offset:         40
        .size:           2
        .value_kind:     hidden_group_size_z
      - .offset:         42
        .size:           2
        .value_kind:     hidden_remainder_x
      - .offset:         44
        .size:           2
        .value_kind:     hidden_remainder_y
      - .offset:         46
        .size:           2
        .value_kind:     hidden_remainder_z
      - .offset:         64
        .size:           8
        .value_kind:     hidden_global_offset_x
      - .offset:         72
        .size:           8
        .value_kind:     hidden_global_offset_y
      - .offset:         80
        .size:           8
        .value_kind:     hidden_global_offset_z
      - .offset:         88
        .size:           2
        .value_kind:     hidden_grid_dims
    .group_segment_fixed_size: 60
    .kernarg_segment_align: 8
    .kernarg_segment_size: 280
    .language:       OpenCL C
    .language_version:
      - 2
      - 0
    .max_flat_workgroup_size: 60
    .name:           _Z6kernelI14inclusive_scaniLj60ELj15ELj100EEvPKT0_PS1_S1_
    .private_segment_fixed_size: 0
    .sgpr_count:     16
    .sgpr_spill_count: 0
    .symbol:         _Z6kernelI14inclusive_scaniLj60ELj15ELj100EEvPKT0_PS1_S1_.kd
    .uniform_work_group_size: 1
    .uses_dynamic_stack: false
    .vgpr_count:     9
    .vgpr_spill_count: 0
    .wavefront_size: 64
  - .args:
      - .address_space:  global
        .offset:         0
        .size:           8
        .value_kind:     global_buffer
      - .address_space:  global
        .offset:         8
        .size:           8
        .value_kind:     global_buffer
      - .offset:         16
        .size:           4
        .value_kind:     by_value
      - .offset:         24
        .size:           4
        .value_kind:     hidden_block_count_x
      - .offset:         28
        .size:           4
        .value_kind:     hidden_block_count_y
      - .offset:         32
        .size:           4
        .value_kind:     hidden_block_count_z
      - .offset:         36
        .size:           2
        .value_kind:     hidden_group_size_x
      - .offset:         38
        .size:           2
        .value_kind:     hidden_group_size_y
      - .offset:         40
        .size:           2
        .value_kind:     hidden_group_size_z
      - .offset:         42
        .size:           2
        .value_kind:     hidden_remainder_x
      - .offset:         44
        .size:           2
        .value_kind:     hidden_remainder_y
      - .offset:         46
        .size:           2
        .value_kind:     hidden_remainder_z
      - .offset:         64
        .size:           8
        .value_kind:     hidden_global_offset_x
      - .offset:         72
        .size:           8
        .value_kind:     hidden_global_offset_y
      - .offset:         80
        .size:           8
        .value_kind:     hidden_global_offset_z
      - .offset:         88
        .size:           2
        .value_kind:     hidden_grid_dims
    .group_segment_fixed_size: 0
    .kernarg_segment_align: 8
    .kernarg_segment_size: 280
    .language:       OpenCL C
    .language_version:
      - 2
      - 0
    .max_flat_workgroup_size: 256
    .name:           _Z6kernelI14inclusive_scaniLj256ELj16ELj100EEvPKT0_PS1_S1_
    .private_segment_fixed_size: 0
    .sgpr_count:     16
    .sgpr_spill_count: 0
    .symbol:         _Z6kernelI14inclusive_scaniLj256ELj16ELj100EEvPKT0_PS1_S1_.kd
    .uniform_work_group_size: 1
    .uses_dynamic_stack: false
    .vgpr_count:     4
    .vgpr_spill_count: 0
    .wavefront_size: 64
  - .args:
      - .address_space:  global
        .offset:         0
        .size:           8
        .value_kind:     global_buffer
      - .address_space:  global
        .offset:         8
        .size:           8
        .value_kind:     global_buffer
      - .offset:         16
        .size:           4
        .value_kind:     by_value
      - .offset:         24
        .size:           4
        .value_kind:     hidden_block_count_x
      - .offset:         28
        .size:           4
        .value_kind:     hidden_block_count_y
      - .offset:         32
        .size:           4
        .value_kind:     hidden_block_count_z
      - .offset:         36
        .size:           2
        .value_kind:     hidden_group_size_x
      - .offset:         38
        .size:           2
        .value_kind:     hidden_group_size_y
      - .offset:         40
        .size:           2
        .value_kind:     hidden_group_size_z
      - .offset:         42
        .size:           2
        .value_kind:     hidden_remainder_x
      - .offset:         44
        .size:           2
        .value_kind:     hidden_remainder_y
      - .offset:         46
        .size:           2
        .value_kind:     hidden_remainder_z
      - .offset:         64
        .size:           8
        .value_kind:     hidden_global_offset_x
      - .offset:         72
        .size:           8
        .value_kind:     hidden_global_offset_y
      - .offset:         80
        .size:           8
        .value_kind:     hidden_global_offset_z
      - .offset:         88
        .size:           2
        .value_kind:     hidden_grid_dims
    .group_segment_fixed_size: 124
    .kernarg_segment_align: 8
    .kernarg_segment_size: 280
    .language:       OpenCL C
    .language_version:
      - 2
      - 0
    .max_flat_workgroup_size: 62
    .name:           _Z6kernelI14inclusive_scaniLj62ELj31ELj100EEvPKT0_PS1_S1_
    .private_segment_fixed_size: 0
    .sgpr_count:     17
    .sgpr_spill_count: 0
    .symbol:         _Z6kernelI14inclusive_scaniLj62ELj31ELj100EEvPKT0_PS1_S1_.kd
    .uniform_work_group_size: 1
    .uses_dynamic_stack: false
    .vgpr_count:     10
    .vgpr_spill_count: 0
    .wavefront_size: 64
  - .args:
      - .address_space:  global
        .offset:         0
        .size:           8
        .value_kind:     global_buffer
      - .address_space:  global
        .offset:         8
        .size:           8
        .value_kind:     global_buffer
      - .offset:         16
        .size:           4
        .value_kind:     by_value
      - .offset:         24
        .size:           4
        .value_kind:     hidden_block_count_x
      - .offset:         28
        .size:           4
        .value_kind:     hidden_block_count_y
      - .offset:         32
        .size:           4
        .value_kind:     hidden_block_count_z
      - .offset:         36
        .size:           2
        .value_kind:     hidden_group_size_x
      - .offset:         38
        .size:           2
        .value_kind:     hidden_group_size_y
      - .offset:         40
        .size:           2
        .value_kind:     hidden_group_size_z
      - .offset:         42
        .size:           2
        .value_kind:     hidden_remainder_x
      - .offset:         44
        .size:           2
        .value_kind:     hidden_remainder_y
      - .offset:         46
        .size:           2
        .value_kind:     hidden_remainder_z
      - .offset:         64
        .size:           8
        .value_kind:     hidden_global_offset_x
      - .offset:         72
        .size:           8
        .value_kind:     hidden_global_offset_y
      - .offset:         80
        .size:           8
        .value_kind:     hidden_global_offset_z
      - .offset:         88
        .size:           2
        .value_kind:     hidden_grid_dims
    .group_segment_fixed_size: 0
    .kernarg_segment_align: 8
    .kernarg_segment_size: 280
    .language:       OpenCL C
    .language_version:
      - 2
      - 0
    .max_flat_workgroup_size: 256
    .name:           _Z6kernelI14inclusive_scaniLj256ELj32ELj100EEvPKT0_PS1_S1_
    .private_segment_fixed_size: 0
    .sgpr_count:     16
    .sgpr_spill_count: 0
    .symbol:         _Z6kernelI14inclusive_scaniLj256ELj32ELj100EEvPKT0_PS1_S1_.kd
    .uniform_work_group_size: 1
    .uses_dynamic_stack: false
    .vgpr_count:     5
    .vgpr_spill_count: 0
    .wavefront_size: 64
  - .args:
      - .address_space:  global
        .offset:         0
        .size:           8
        .value_kind:     global_buffer
      - .address_space:  global
        .offset:         8
        .size:           8
        .value_kind:     global_buffer
      - .offset:         16
        .size:           4
        .value_kind:     by_value
      - .offset:         24
        .size:           4
        .value_kind:     hidden_block_count_x
      - .offset:         28
        .size:           4
        .value_kind:     hidden_block_count_y
      - .offset:         32
        .size:           4
        .value_kind:     hidden_block_count_z
      - .offset:         36
        .size:           2
        .value_kind:     hidden_group_size_x
      - .offset:         38
        .size:           2
        .value_kind:     hidden_group_size_y
      - .offset:         40
        .size:           2
        .value_kind:     hidden_group_size_z
      - .offset:         42
        .size:           2
        .value_kind:     hidden_remainder_x
      - .offset:         44
        .size:           2
        .value_kind:     hidden_remainder_y
      - .offset:         46
        .size:           2
        .value_kind:     hidden_remainder_z
      - .offset:         64
        .size:           8
        .value_kind:     hidden_global_offset_x
      - .offset:         72
        .size:           8
        .value_kind:     hidden_global_offset_y
      - .offset:         80
        .size:           8
        .value_kind:     hidden_global_offset_z
      - .offset:         88
        .size:           2
        .value_kind:     hidden_grid_dims
    .group_segment_fixed_size: 252
    .kernarg_segment_align: 8
    .kernarg_segment_size: 280
    .language:       OpenCL C
    .language_version:
      - 2
      - 0
    .max_flat_workgroup_size: 63
    .name:           _Z6kernelI14inclusive_scaniLj63ELj63ELj100EEvPKT0_PS1_S1_
    .private_segment_fixed_size: 0
    .sgpr_count:     19
    .sgpr_spill_count: 0
    .symbol:         _Z6kernelI14inclusive_scaniLj63ELj63ELj100EEvPKT0_PS1_S1_.kd
    .uniform_work_group_size: 1
    .uses_dynamic_stack: false
    .vgpr_count:     11
    .vgpr_spill_count: 0
    .wavefront_size: 64
  - .args:
      - .address_space:  global
        .offset:         0
        .size:           8
        .value_kind:     global_buffer
      - .address_space:  global
        .offset:         8
        .size:           8
        .value_kind:     global_buffer
      - .offset:         16
        .size:           4
        .value_kind:     by_value
      - .offset:         24
        .size:           4
        .value_kind:     hidden_block_count_x
      - .offset:         28
        .size:           4
        .value_kind:     hidden_block_count_y
      - .offset:         32
        .size:           4
        .value_kind:     hidden_block_count_z
      - .offset:         36
        .size:           2
        .value_kind:     hidden_group_size_x
      - .offset:         38
        .size:           2
        .value_kind:     hidden_group_size_y
      - .offset:         40
        .size:           2
        .value_kind:     hidden_group_size_z
      - .offset:         42
        .size:           2
        .value_kind:     hidden_remainder_x
      - .offset:         44
        .size:           2
        .value_kind:     hidden_remainder_y
      - .offset:         46
        .size:           2
        .value_kind:     hidden_remainder_z
      - .offset:         64
        .size:           8
        .value_kind:     hidden_global_offset_x
      - .offset:         72
        .size:           8
        .value_kind:     hidden_global_offset_y
      - .offset:         80
        .size:           8
        .value_kind:     hidden_global_offset_z
      - .offset:         88
        .size:           2
        .value_kind:     hidden_grid_dims
    .group_segment_fixed_size: 0
    .kernarg_segment_align: 8
    .kernarg_segment_size: 280
    .language:       OpenCL C
    .language_version:
      - 2
      - 0
    .max_flat_workgroup_size: 64
    .name:           _Z6kernelI14inclusive_scaniLj64ELj64ELj100EEvPKT0_PS1_S1_
    .private_segment_fixed_size: 0
    .sgpr_count:     17
    .sgpr_spill_count: 0
    .symbol:         _Z6kernelI14inclusive_scaniLj64ELj64ELj100EEvPKT0_PS1_S1_.kd
    .uniform_work_group_size: 1
    .uses_dynamic_stack: false
    .vgpr_count:     5
    .vgpr_spill_count: 0
    .wavefront_size: 64
  - .args:
      - .address_space:  global
        .offset:         0
        .size:           8
        .value_kind:     global_buffer
      - .address_space:  global
        .offset:         8
        .size:           8
        .value_kind:     global_buffer
      - .offset:         16
        .size:           4
        .value_kind:     by_value
      - .offset:         24
        .size:           4
        .value_kind:     hidden_block_count_x
      - .offset:         28
        .size:           4
        .value_kind:     hidden_block_count_y
      - .offset:         32
        .size:           4
        .value_kind:     hidden_block_count_z
      - .offset:         36
        .size:           2
        .value_kind:     hidden_group_size_x
      - .offset:         38
        .size:           2
        .value_kind:     hidden_group_size_y
      - .offset:         40
        .size:           2
        .value_kind:     hidden_group_size_z
      - .offset:         42
        .size:           2
        .value_kind:     hidden_remainder_x
      - .offset:         44
        .size:           2
        .value_kind:     hidden_remainder_y
      - .offset:         46
        .size:           2
        .value_kind:     hidden_remainder_z
      - .offset:         64
        .size:           8
        .value_kind:     hidden_global_offset_x
      - .offset:         72
        .size:           8
        .value_kind:     hidden_global_offset_y
      - .offset:         80
        .size:           8
        .value_kind:     hidden_global_offset_z
      - .offset:         88
        .size:           2
        .value_kind:     hidden_grid_dims
    .group_segment_fixed_size: 0
    .kernarg_segment_align: 8
    .kernarg_segment_size: 280
    .language:       OpenCL C
    .language_version:
      - 2
      - 0
    .max_flat_workgroup_size: 128
    .name:           _Z6kernelI14inclusive_scaniLj128ELj64ELj100EEvPKT0_PS1_S1_
    .private_segment_fixed_size: 0
    .sgpr_count:     17
    .sgpr_spill_count: 0
    .symbol:         _Z6kernelI14inclusive_scaniLj128ELj64ELj100EEvPKT0_PS1_S1_.kd
    .uniform_work_group_size: 1
    .uses_dynamic_stack: false
    .vgpr_count:     5
    .vgpr_spill_count: 0
    .wavefront_size: 64
  - .args:
      - .address_space:  global
        .offset:         0
        .size:           8
        .value_kind:     global_buffer
      - .address_space:  global
        .offset:         8
        .size:           8
        .value_kind:     global_buffer
      - .offset:         16
        .size:           4
        .value_kind:     by_value
      - .offset:         24
        .size:           4
        .value_kind:     hidden_block_count_x
      - .offset:         28
        .size:           4
        .value_kind:     hidden_block_count_y
      - .offset:         32
        .size:           4
        .value_kind:     hidden_block_count_z
      - .offset:         36
        .size:           2
        .value_kind:     hidden_group_size_x
      - .offset:         38
        .size:           2
        .value_kind:     hidden_group_size_y
      - .offset:         40
        .size:           2
        .value_kind:     hidden_group_size_z
      - .offset:         42
        .size:           2
        .value_kind:     hidden_remainder_x
      - .offset:         44
        .size:           2
        .value_kind:     hidden_remainder_y
      - .offset:         46
        .size:           2
        .value_kind:     hidden_remainder_z
      - .offset:         64
        .size:           8
        .value_kind:     hidden_global_offset_x
      - .offset:         72
        .size:           8
        .value_kind:     hidden_global_offset_y
      - .offset:         80
        .size:           8
        .value_kind:     hidden_global_offset_z
      - .offset:         88
        .size:           2
        .value_kind:     hidden_grid_dims
    .group_segment_fixed_size: 0
    .kernarg_segment_align: 8
    .kernarg_segment_size: 280
    .language:       OpenCL C
    .language_version:
      - 2
      - 0
    .max_flat_workgroup_size: 256
    .name:           _Z6kernelI14inclusive_scaniLj256ELj64ELj100EEvPKT0_PS1_S1_
    .private_segment_fixed_size: 0
    .sgpr_count:     17
    .sgpr_spill_count: 0
    .symbol:         _Z6kernelI14inclusive_scaniLj256ELj64ELj100EEvPKT0_PS1_S1_.kd
    .uniform_work_group_size: 1
    .uses_dynamic_stack: false
    .vgpr_count:     5
    .vgpr_spill_count: 0
    .wavefront_size: 64
  - .args:
      - .address_space:  global
        .offset:         0
        .size:           8
        .value_kind:     global_buffer
      - .address_space:  global
        .offset:         8
        .size:           8
        .value_kind:     global_buffer
      - .offset:         16
        .size:           4
        .value_kind:     by_value
      - .offset:         24
        .size:           4
        .value_kind:     hidden_block_count_x
      - .offset:         28
        .size:           4
        .value_kind:     hidden_block_count_y
      - .offset:         32
        .size:           4
        .value_kind:     hidden_block_count_z
      - .offset:         36
        .size:           2
        .value_kind:     hidden_group_size_x
      - .offset:         38
        .size:           2
        .value_kind:     hidden_group_size_y
      - .offset:         40
        .size:           2
        .value_kind:     hidden_group_size_z
      - .offset:         42
        .size:           2
        .value_kind:     hidden_remainder_x
      - .offset:         44
        .size:           2
        .value_kind:     hidden_remainder_y
      - .offset:         46
        .size:           2
        .value_kind:     hidden_remainder_z
      - .offset:         64
        .size:           8
        .value_kind:     hidden_global_offset_x
      - .offset:         72
        .size:           8
        .value_kind:     hidden_global_offset_y
      - .offset:         80
        .size:           8
        .value_kind:     hidden_global_offset_z
      - .offset:         88
        .size:           2
        .value_kind:     hidden_grid_dims
    .group_segment_fixed_size: 60
    .kernarg_segment_align: 8
    .kernarg_segment_size: 280
    .language:       OpenCL C
    .language_version:
      - 2
      - 0
    .max_flat_workgroup_size: 60
    .name:           _Z6kernelI14inclusive_scanfLj60ELj15ELj100EEvPKT0_PS1_S1_
    .private_segment_fixed_size: 0
    .sgpr_count:     16
    .sgpr_spill_count: 0
    .symbol:         _Z6kernelI14inclusive_scanfLj60ELj15ELj100EEvPKT0_PS1_S1_.kd
    .uniform_work_group_size: 1
    .uses_dynamic_stack: false
    .vgpr_count:     9
    .vgpr_spill_count: 0
    .wavefront_size: 64
  - .args:
      - .address_space:  global
        .offset:         0
        .size:           8
        .value_kind:     global_buffer
      - .address_space:  global
        .offset:         8
        .size:           8
        .value_kind:     global_buffer
      - .offset:         16
        .size:           4
        .value_kind:     by_value
      - .offset:         24
        .size:           4
        .value_kind:     hidden_block_count_x
      - .offset:         28
        .size:           4
        .value_kind:     hidden_block_count_y
      - .offset:         32
        .size:           4
        .value_kind:     hidden_block_count_z
      - .offset:         36
        .size:           2
        .value_kind:     hidden_group_size_x
      - .offset:         38
        .size:           2
        .value_kind:     hidden_group_size_y
      - .offset:         40
        .size:           2
        .value_kind:     hidden_group_size_z
      - .offset:         42
        .size:           2
        .value_kind:     hidden_remainder_x
      - .offset:         44
        .size:           2
        .value_kind:     hidden_remainder_y
      - .offset:         46
        .size:           2
        .value_kind:     hidden_remainder_z
      - .offset:         64
        .size:           8
        .value_kind:     hidden_global_offset_x
      - .offset:         72
        .size:           8
        .value_kind:     hidden_global_offset_y
      - .offset:         80
        .size:           8
        .value_kind:     hidden_global_offset_z
      - .offset:         88
        .size:           2
        .value_kind:     hidden_grid_dims
    .group_segment_fixed_size: 0
    .kernarg_segment_align: 8
    .kernarg_segment_size: 280
    .language:       OpenCL C
    .language_version:
      - 2
      - 0
    .max_flat_workgroup_size: 256
    .name:           _Z6kernelI14inclusive_scanfLj256ELj16ELj100EEvPKT0_PS1_S1_
    .private_segment_fixed_size: 0
    .sgpr_count:     16
    .sgpr_spill_count: 0
    .symbol:         _Z6kernelI14inclusive_scanfLj256ELj16ELj100EEvPKT0_PS1_S1_.kd
    .uniform_work_group_size: 1
    .uses_dynamic_stack: false
    .vgpr_count:     4
    .vgpr_spill_count: 0
    .wavefront_size: 64
  - .args:
      - .address_space:  global
        .offset:         0
        .size:           8
        .value_kind:     global_buffer
      - .address_space:  global
        .offset:         8
        .size:           8
        .value_kind:     global_buffer
      - .offset:         16
        .size:           4
        .value_kind:     by_value
      - .offset:         24
        .size:           4
        .value_kind:     hidden_block_count_x
      - .offset:         28
        .size:           4
        .value_kind:     hidden_block_count_y
      - .offset:         32
        .size:           4
        .value_kind:     hidden_block_count_z
      - .offset:         36
        .size:           2
        .value_kind:     hidden_group_size_x
      - .offset:         38
        .size:           2
        .value_kind:     hidden_group_size_y
      - .offset:         40
        .size:           2
        .value_kind:     hidden_group_size_z
      - .offset:         42
        .size:           2
        .value_kind:     hidden_remainder_x
      - .offset:         44
        .size:           2
        .value_kind:     hidden_remainder_y
      - .offset:         46
        .size:           2
        .value_kind:     hidden_remainder_z
      - .offset:         64
        .size:           8
        .value_kind:     hidden_global_offset_x
      - .offset:         72
        .size:           8
        .value_kind:     hidden_global_offset_y
      - .offset:         80
        .size:           8
        .value_kind:     hidden_global_offset_z
      - .offset:         88
        .size:           2
        .value_kind:     hidden_grid_dims
    .group_segment_fixed_size: 124
    .kernarg_segment_align: 8
    .kernarg_segment_size: 280
    .language:       OpenCL C
    .language_version:
      - 2
      - 0
    .max_flat_workgroup_size: 62
    .name:           _Z6kernelI14inclusive_scanfLj62ELj31ELj100EEvPKT0_PS1_S1_
    .private_segment_fixed_size: 0
    .sgpr_count:     17
    .sgpr_spill_count: 0
    .symbol:         _Z6kernelI14inclusive_scanfLj62ELj31ELj100EEvPKT0_PS1_S1_.kd
    .uniform_work_group_size: 1
    .uses_dynamic_stack: false
    .vgpr_count:     10
    .vgpr_spill_count: 0
    .wavefront_size: 64
  - .args:
      - .address_space:  global
        .offset:         0
        .size:           8
        .value_kind:     global_buffer
      - .address_space:  global
        .offset:         8
        .size:           8
        .value_kind:     global_buffer
      - .offset:         16
        .size:           4
        .value_kind:     by_value
      - .offset:         24
        .size:           4
        .value_kind:     hidden_block_count_x
      - .offset:         28
        .size:           4
        .value_kind:     hidden_block_count_y
      - .offset:         32
        .size:           4
        .value_kind:     hidden_block_count_z
      - .offset:         36
        .size:           2
        .value_kind:     hidden_group_size_x
      - .offset:         38
        .size:           2
        .value_kind:     hidden_group_size_y
      - .offset:         40
        .size:           2
        .value_kind:     hidden_group_size_z
      - .offset:         42
        .size:           2
        .value_kind:     hidden_remainder_x
      - .offset:         44
        .size:           2
        .value_kind:     hidden_remainder_y
      - .offset:         46
        .size:           2
        .value_kind:     hidden_remainder_z
      - .offset:         64
        .size:           8
        .value_kind:     hidden_global_offset_x
      - .offset:         72
        .size:           8
        .value_kind:     hidden_global_offset_y
      - .offset:         80
        .size:           8
        .value_kind:     hidden_global_offset_z
      - .offset:         88
        .size:           2
        .value_kind:     hidden_grid_dims
    .group_segment_fixed_size: 0
    .kernarg_segment_align: 8
    .kernarg_segment_size: 280
    .language:       OpenCL C
    .language_version:
      - 2
      - 0
    .max_flat_workgroup_size: 256
    .name:           _Z6kernelI14inclusive_scanfLj256ELj32ELj100EEvPKT0_PS1_S1_
    .private_segment_fixed_size: 0
    .sgpr_count:     16
    .sgpr_spill_count: 0
    .symbol:         _Z6kernelI14inclusive_scanfLj256ELj32ELj100EEvPKT0_PS1_S1_.kd
    .uniform_work_group_size: 1
    .uses_dynamic_stack: false
    .vgpr_count:     5
    .vgpr_spill_count: 0
    .wavefront_size: 64
  - .args:
      - .address_space:  global
        .offset:         0
        .size:           8
        .value_kind:     global_buffer
      - .address_space:  global
        .offset:         8
        .size:           8
        .value_kind:     global_buffer
      - .offset:         16
        .size:           4
        .value_kind:     by_value
      - .offset:         24
        .size:           4
        .value_kind:     hidden_block_count_x
      - .offset:         28
        .size:           4
        .value_kind:     hidden_block_count_y
      - .offset:         32
        .size:           4
        .value_kind:     hidden_block_count_z
      - .offset:         36
        .size:           2
        .value_kind:     hidden_group_size_x
      - .offset:         38
        .size:           2
        .value_kind:     hidden_group_size_y
      - .offset:         40
        .size:           2
        .value_kind:     hidden_group_size_z
      - .offset:         42
        .size:           2
        .value_kind:     hidden_remainder_x
      - .offset:         44
        .size:           2
        .value_kind:     hidden_remainder_y
      - .offset:         46
        .size:           2
        .value_kind:     hidden_remainder_z
      - .offset:         64
        .size:           8
        .value_kind:     hidden_global_offset_x
      - .offset:         72
        .size:           8
        .value_kind:     hidden_global_offset_y
      - .offset:         80
        .size:           8
        .value_kind:     hidden_global_offset_z
      - .offset:         88
        .size:           2
        .value_kind:     hidden_grid_dims
    .group_segment_fixed_size: 252
    .kernarg_segment_align: 8
    .kernarg_segment_size: 280
    .language:       OpenCL C
    .language_version:
      - 2
      - 0
    .max_flat_workgroup_size: 63
    .name:           _Z6kernelI14inclusive_scanfLj63ELj63ELj100EEvPKT0_PS1_S1_
    .private_segment_fixed_size: 0
    .sgpr_count:     19
    .sgpr_spill_count: 0
    .symbol:         _Z6kernelI14inclusive_scanfLj63ELj63ELj100EEvPKT0_PS1_S1_.kd
    .uniform_work_group_size: 1
    .uses_dynamic_stack: false
    .vgpr_count:     11
    .vgpr_spill_count: 0
    .wavefront_size: 64
  - .args:
      - .address_space:  global
        .offset:         0
        .size:           8
        .value_kind:     global_buffer
      - .address_space:  global
        .offset:         8
        .size:           8
        .value_kind:     global_buffer
      - .offset:         16
        .size:           4
        .value_kind:     by_value
      - .offset:         24
        .size:           4
        .value_kind:     hidden_block_count_x
      - .offset:         28
        .size:           4
        .value_kind:     hidden_block_count_y
      - .offset:         32
        .size:           4
        .value_kind:     hidden_block_count_z
      - .offset:         36
        .size:           2
        .value_kind:     hidden_group_size_x
      - .offset:         38
        .size:           2
        .value_kind:     hidden_group_size_y
      - .offset:         40
        .size:           2
        .value_kind:     hidden_group_size_z
      - .offset:         42
        .size:           2
        .value_kind:     hidden_remainder_x
      - .offset:         44
        .size:           2
        .value_kind:     hidden_remainder_y
      - .offset:         46
        .size:           2
        .value_kind:     hidden_remainder_z
      - .offset:         64
        .size:           8
        .value_kind:     hidden_global_offset_x
      - .offset:         72
        .size:           8
        .value_kind:     hidden_global_offset_y
      - .offset:         80
        .size:           8
        .value_kind:     hidden_global_offset_z
      - .offset:         88
        .size:           2
        .value_kind:     hidden_grid_dims
    .group_segment_fixed_size: 0
    .kernarg_segment_align: 8
    .kernarg_segment_size: 280
    .language:       OpenCL C
    .language_version:
      - 2
      - 0
    .max_flat_workgroup_size: 64
    .name:           _Z6kernelI14inclusive_scanfLj64ELj64ELj100EEvPKT0_PS1_S1_
    .private_segment_fixed_size: 0
    .sgpr_count:     17
    .sgpr_spill_count: 0
    .symbol:         _Z6kernelI14inclusive_scanfLj64ELj64ELj100EEvPKT0_PS1_S1_.kd
    .uniform_work_group_size: 1
    .uses_dynamic_stack: false
    .vgpr_count:     5
    .vgpr_spill_count: 0
    .wavefront_size: 64
  - .args:
      - .address_space:  global
        .offset:         0
        .size:           8
        .value_kind:     global_buffer
      - .address_space:  global
        .offset:         8
        .size:           8
        .value_kind:     global_buffer
      - .offset:         16
        .size:           4
        .value_kind:     by_value
      - .offset:         24
        .size:           4
        .value_kind:     hidden_block_count_x
      - .offset:         28
        .size:           4
        .value_kind:     hidden_block_count_y
      - .offset:         32
        .size:           4
        .value_kind:     hidden_block_count_z
      - .offset:         36
        .size:           2
        .value_kind:     hidden_group_size_x
      - .offset:         38
        .size:           2
        .value_kind:     hidden_group_size_y
      - .offset:         40
        .size:           2
        .value_kind:     hidden_group_size_z
      - .offset:         42
        .size:           2
        .value_kind:     hidden_remainder_x
      - .offset:         44
        .size:           2
        .value_kind:     hidden_remainder_y
      - .offset:         46
        .size:           2
        .value_kind:     hidden_remainder_z
      - .offset:         64
        .size:           8
        .value_kind:     hidden_global_offset_x
      - .offset:         72
        .size:           8
        .value_kind:     hidden_global_offset_y
      - .offset:         80
        .size:           8
        .value_kind:     hidden_global_offset_z
      - .offset:         88
        .size:           2
        .value_kind:     hidden_grid_dims
    .group_segment_fixed_size: 0
    .kernarg_segment_align: 8
    .kernarg_segment_size: 280
    .language:       OpenCL C
    .language_version:
      - 2
      - 0
    .max_flat_workgroup_size: 128
    .name:           _Z6kernelI14inclusive_scanfLj128ELj64ELj100EEvPKT0_PS1_S1_
    .private_segment_fixed_size: 0
    .sgpr_count:     17
    .sgpr_spill_count: 0
    .symbol:         _Z6kernelI14inclusive_scanfLj128ELj64ELj100EEvPKT0_PS1_S1_.kd
    .uniform_work_group_size: 1
    .uses_dynamic_stack: false
    .vgpr_count:     5
    .vgpr_spill_count: 0
    .wavefront_size: 64
  - .args:
      - .address_space:  global
        .offset:         0
        .size:           8
        .value_kind:     global_buffer
      - .address_space:  global
        .offset:         8
        .size:           8
        .value_kind:     global_buffer
      - .offset:         16
        .size:           4
        .value_kind:     by_value
      - .offset:         24
        .size:           4
        .value_kind:     hidden_block_count_x
      - .offset:         28
        .size:           4
        .value_kind:     hidden_block_count_y
      - .offset:         32
        .size:           4
        .value_kind:     hidden_block_count_z
      - .offset:         36
        .size:           2
        .value_kind:     hidden_group_size_x
      - .offset:         38
        .size:           2
        .value_kind:     hidden_group_size_y
      - .offset:         40
        .size:           2
        .value_kind:     hidden_group_size_z
      - .offset:         42
        .size:           2
        .value_kind:     hidden_remainder_x
      - .offset:         44
        .size:           2
        .value_kind:     hidden_remainder_y
      - .offset:         46
        .size:           2
        .value_kind:     hidden_remainder_z
      - .offset:         64
        .size:           8
        .value_kind:     hidden_global_offset_x
      - .offset:         72
        .size:           8
        .value_kind:     hidden_global_offset_y
      - .offset:         80
        .size:           8
        .value_kind:     hidden_global_offset_z
      - .offset:         88
        .size:           2
        .value_kind:     hidden_grid_dims
    .group_segment_fixed_size: 0
    .kernarg_segment_align: 8
    .kernarg_segment_size: 280
    .language:       OpenCL C
    .language_version:
      - 2
      - 0
    .max_flat_workgroup_size: 256
    .name:           _Z6kernelI14inclusive_scanfLj256ELj64ELj100EEvPKT0_PS1_S1_
    .private_segment_fixed_size: 0
    .sgpr_count:     17
    .sgpr_spill_count: 0
    .symbol:         _Z6kernelI14inclusive_scanfLj256ELj64ELj100EEvPKT0_PS1_S1_.kd
    .uniform_work_group_size: 1
    .uses_dynamic_stack: false
    .vgpr_count:     5
    .vgpr_spill_count: 0
    .wavefront_size: 64
  - .args:
      - .address_space:  global
        .offset:         0
        .size:           8
        .value_kind:     global_buffer
      - .address_space:  global
        .offset:         8
        .size:           8
        .value_kind:     global_buffer
      - .offset:         16
        .size:           8
        .value_kind:     by_value
      - .offset:         24
        .size:           4
        .value_kind:     hidden_block_count_x
      - .offset:         28
        .size:           4
        .value_kind:     hidden_block_count_y
      - .offset:         32
        .size:           4
        .value_kind:     hidden_block_count_z
      - .offset:         36
        .size:           2
        .value_kind:     hidden_group_size_x
      - .offset:         38
        .size:           2
        .value_kind:     hidden_group_size_y
      - .offset:         40
        .size:           2
        .value_kind:     hidden_group_size_z
      - .offset:         42
        .size:           2
        .value_kind:     hidden_remainder_x
      - .offset:         44
        .size:           2
        .value_kind:     hidden_remainder_y
      - .offset:         46
        .size:           2
        .value_kind:     hidden_remainder_z
      - .offset:         64
        .size:           8
        .value_kind:     hidden_global_offset_x
      - .offset:         72
        .size:           8
        .value_kind:     hidden_global_offset_y
      - .offset:         80
        .size:           8
        .value_kind:     hidden_global_offset_z
      - .offset:         88
        .size:           2
        .value_kind:     hidden_grid_dims
    .group_segment_fixed_size: 120
    .kernarg_segment_align: 8
    .kernarg_segment_size: 280
    .language:       OpenCL C
    .language_version:
      - 2
      - 0
    .max_flat_workgroup_size: 60
    .name:           _Z6kernelI14inclusive_scandLj60ELj15ELj100EEvPKT0_PS1_S1_
    .private_segment_fixed_size: 0
    .sgpr_count:     16
    .sgpr_spill_count: 0
    .symbol:         _Z6kernelI14inclusive_scandLj60ELj15ELj100EEvPKT0_PS1_S1_.kd
    .uniform_work_group_size: 1
    .uses_dynamic_stack: false
    .vgpr_count:     11
    .vgpr_spill_count: 0
    .wavefront_size: 64
  - .args:
      - .address_space:  global
        .offset:         0
        .size:           8
        .value_kind:     global_buffer
      - .address_space:  global
        .offset:         8
        .size:           8
        .value_kind:     global_buffer
      - .offset:         16
        .size:           8
        .value_kind:     by_value
      - .offset:         24
        .size:           4
        .value_kind:     hidden_block_count_x
      - .offset:         28
        .size:           4
        .value_kind:     hidden_block_count_y
      - .offset:         32
        .size:           4
        .value_kind:     hidden_block_count_z
      - .offset:         36
        .size:           2
        .value_kind:     hidden_group_size_x
      - .offset:         38
        .size:           2
        .value_kind:     hidden_group_size_y
      - .offset:         40
        .size:           2
        .value_kind:     hidden_group_size_z
      - .offset:         42
        .size:           2
        .value_kind:     hidden_remainder_x
      - .offset:         44
        .size:           2
        .value_kind:     hidden_remainder_y
      - .offset:         46
        .size:           2
        .value_kind:     hidden_remainder_z
      - .offset:         64
        .size:           8
        .value_kind:     hidden_global_offset_x
      - .offset:         72
        .size:           8
        .value_kind:     hidden_global_offset_y
      - .offset:         80
        .size:           8
        .value_kind:     hidden_global_offset_z
      - .offset:         88
        .size:           2
        .value_kind:     hidden_grid_dims
    .group_segment_fixed_size: 0
    .kernarg_segment_align: 8
    .kernarg_segment_size: 280
    .language:       OpenCL C
    .language_version:
      - 2
      - 0
    .max_flat_workgroup_size: 256
    .name:           _Z6kernelI14inclusive_scandLj256ELj16ELj100EEvPKT0_PS1_S1_
    .private_segment_fixed_size: 0
    .sgpr_count:     16
    .sgpr_spill_count: 0
    .symbol:         _Z6kernelI14inclusive_scandLj256ELj16ELj100EEvPKT0_PS1_S1_.kd
    .uniform_work_group_size: 1
    .uses_dynamic_stack: false
    .vgpr_count:     6
    .vgpr_spill_count: 0
    .wavefront_size: 64
  - .args:
      - .address_space:  global
        .offset:         0
        .size:           8
        .value_kind:     global_buffer
      - .address_space:  global
        .offset:         8
        .size:           8
        .value_kind:     global_buffer
      - .offset:         16
        .size:           8
        .value_kind:     by_value
      - .offset:         24
        .size:           4
        .value_kind:     hidden_block_count_x
      - .offset:         28
        .size:           4
        .value_kind:     hidden_block_count_y
      - .offset:         32
        .size:           4
        .value_kind:     hidden_block_count_z
      - .offset:         36
        .size:           2
        .value_kind:     hidden_group_size_x
      - .offset:         38
        .size:           2
        .value_kind:     hidden_group_size_y
      - .offset:         40
        .size:           2
        .value_kind:     hidden_group_size_z
      - .offset:         42
        .size:           2
        .value_kind:     hidden_remainder_x
      - .offset:         44
        .size:           2
        .value_kind:     hidden_remainder_y
      - .offset:         46
        .size:           2
        .value_kind:     hidden_remainder_z
      - .offset:         64
        .size:           8
        .value_kind:     hidden_global_offset_x
      - .offset:         72
        .size:           8
        .value_kind:     hidden_global_offset_y
      - .offset:         80
        .size:           8
        .value_kind:     hidden_global_offset_z
      - .offset:         88
        .size:           2
        .value_kind:     hidden_grid_dims
    .group_segment_fixed_size: 248
    .kernarg_segment_align: 8
    .kernarg_segment_size: 280
    .language:       OpenCL C
    .language_version:
      - 2
      - 0
    .max_flat_workgroup_size: 62
    .name:           _Z6kernelI14inclusive_scandLj62ELj31ELj100EEvPKT0_PS1_S1_
    .private_segment_fixed_size: 0
    .sgpr_count:     17
    .sgpr_spill_count: 0
    .symbol:         _Z6kernelI14inclusive_scandLj62ELj31ELj100EEvPKT0_PS1_S1_.kd
    .uniform_work_group_size: 1
    .uses_dynamic_stack: false
    .vgpr_count:     12
    .vgpr_spill_count: 0
    .wavefront_size: 64
  - .args:
      - .address_space:  global
        .offset:         0
        .size:           8
        .value_kind:     global_buffer
      - .address_space:  global
        .offset:         8
        .size:           8
        .value_kind:     global_buffer
      - .offset:         16
        .size:           8
        .value_kind:     by_value
      - .offset:         24
        .size:           4
        .value_kind:     hidden_block_count_x
      - .offset:         28
        .size:           4
        .value_kind:     hidden_block_count_y
      - .offset:         32
        .size:           4
        .value_kind:     hidden_block_count_z
      - .offset:         36
        .size:           2
        .value_kind:     hidden_group_size_x
      - .offset:         38
        .size:           2
        .value_kind:     hidden_group_size_y
      - .offset:         40
        .size:           2
        .value_kind:     hidden_group_size_z
      - .offset:         42
        .size:           2
        .value_kind:     hidden_remainder_x
      - .offset:         44
        .size:           2
        .value_kind:     hidden_remainder_y
      - .offset:         46
        .size:           2
        .value_kind:     hidden_remainder_z
      - .offset:         64
        .size:           8
        .value_kind:     hidden_global_offset_x
      - .offset:         72
        .size:           8
        .value_kind:     hidden_global_offset_y
      - .offset:         80
        .size:           8
        .value_kind:     hidden_global_offset_z
      - .offset:         88
        .size:           2
        .value_kind:     hidden_grid_dims
    .group_segment_fixed_size: 0
    .kernarg_segment_align: 8
    .kernarg_segment_size: 280
    .language:       OpenCL C
    .language_version:
      - 2
      - 0
    .max_flat_workgroup_size: 256
    .name:           _Z6kernelI14inclusive_scandLj256ELj32ELj100EEvPKT0_PS1_S1_
    .private_segment_fixed_size: 0
    .sgpr_count:     17
    .sgpr_spill_count: 0
    .symbol:         _Z6kernelI14inclusive_scandLj256ELj32ELj100EEvPKT0_PS1_S1_.kd
    .uniform_work_group_size: 1
    .uses_dynamic_stack: false
    .vgpr_count:     6
    .vgpr_spill_count: 0
    .wavefront_size: 64
  - .args:
      - .address_space:  global
        .offset:         0
        .size:           8
        .value_kind:     global_buffer
      - .address_space:  global
        .offset:         8
        .size:           8
        .value_kind:     global_buffer
      - .offset:         16
        .size:           8
        .value_kind:     by_value
      - .offset:         24
        .size:           4
        .value_kind:     hidden_block_count_x
      - .offset:         28
        .size:           4
        .value_kind:     hidden_block_count_y
      - .offset:         32
        .size:           4
        .value_kind:     hidden_block_count_z
      - .offset:         36
        .size:           2
        .value_kind:     hidden_group_size_x
      - .offset:         38
        .size:           2
        .value_kind:     hidden_group_size_y
      - .offset:         40
        .size:           2
        .value_kind:     hidden_group_size_z
      - .offset:         42
        .size:           2
        .value_kind:     hidden_remainder_x
      - .offset:         44
        .size:           2
        .value_kind:     hidden_remainder_y
      - .offset:         46
        .size:           2
        .value_kind:     hidden_remainder_z
      - .offset:         64
        .size:           8
        .value_kind:     hidden_global_offset_x
      - .offset:         72
        .size:           8
        .value_kind:     hidden_global_offset_y
      - .offset:         80
        .size:           8
        .value_kind:     hidden_global_offset_z
      - .offset:         88
        .size:           2
        .value_kind:     hidden_grid_dims
    .group_segment_fixed_size: 504
    .kernarg_segment_align: 8
    .kernarg_segment_size: 280
    .language:       OpenCL C
    .language_version:
      - 2
      - 0
    .max_flat_workgroup_size: 63
    .name:           _Z6kernelI14inclusive_scandLj63ELj63ELj100EEvPKT0_PS1_S1_
    .private_segment_fixed_size: 0
    .sgpr_count:     19
    .sgpr_spill_count: 0
    .symbol:         _Z6kernelI14inclusive_scandLj63ELj63ELj100EEvPKT0_PS1_S1_.kd
    .uniform_work_group_size: 1
    .uses_dynamic_stack: false
    .vgpr_count:     13
    .vgpr_spill_count: 0
    .wavefront_size: 64
  - .args:
      - .address_space:  global
        .offset:         0
        .size:           8
        .value_kind:     global_buffer
      - .address_space:  global
        .offset:         8
        .size:           8
        .value_kind:     global_buffer
      - .offset:         16
        .size:           8
        .value_kind:     by_value
      - .offset:         24
        .size:           4
        .value_kind:     hidden_block_count_x
      - .offset:         28
        .size:           4
        .value_kind:     hidden_block_count_y
      - .offset:         32
        .size:           4
        .value_kind:     hidden_block_count_z
      - .offset:         36
        .size:           2
        .value_kind:     hidden_group_size_x
      - .offset:         38
        .size:           2
        .value_kind:     hidden_group_size_y
      - .offset:         40
        .size:           2
        .value_kind:     hidden_group_size_z
      - .offset:         42
        .size:           2
        .value_kind:     hidden_remainder_x
      - .offset:         44
        .size:           2
        .value_kind:     hidden_remainder_y
      - .offset:         46
        .size:           2
        .value_kind:     hidden_remainder_z
      - .offset:         64
        .size:           8
        .value_kind:     hidden_global_offset_x
      - .offset:         72
        .size:           8
        .value_kind:     hidden_global_offset_y
      - .offset:         80
        .size:           8
        .value_kind:     hidden_global_offset_z
      - .offset:         88
        .size:           2
        .value_kind:     hidden_grid_dims
    .group_segment_fixed_size: 0
    .kernarg_segment_align: 8
    .kernarg_segment_size: 280
    .language:       OpenCL C
    .language_version:
      - 2
      - 0
    .max_flat_workgroup_size: 64
    .name:           _Z6kernelI14inclusive_scandLj64ELj64ELj100EEvPKT0_PS1_S1_
    .private_segment_fixed_size: 0
    .sgpr_count:     19
    .sgpr_spill_count: 0
    .symbol:         _Z6kernelI14inclusive_scandLj64ELj64ELj100EEvPKT0_PS1_S1_.kd
    .uniform_work_group_size: 1
    .uses_dynamic_stack: false
    .vgpr_count:     6
    .vgpr_spill_count: 0
    .wavefront_size: 64
  - .args:
      - .address_space:  global
        .offset:         0
        .size:           8
        .value_kind:     global_buffer
      - .address_space:  global
        .offset:         8
        .size:           8
        .value_kind:     global_buffer
      - .offset:         16
        .size:           8
        .value_kind:     by_value
      - .offset:         24
        .size:           4
        .value_kind:     hidden_block_count_x
      - .offset:         28
        .size:           4
        .value_kind:     hidden_block_count_y
      - .offset:         32
        .size:           4
        .value_kind:     hidden_block_count_z
      - .offset:         36
        .size:           2
        .value_kind:     hidden_group_size_x
      - .offset:         38
        .size:           2
        .value_kind:     hidden_group_size_y
      - .offset:         40
        .size:           2
        .value_kind:     hidden_group_size_z
      - .offset:         42
        .size:           2
        .value_kind:     hidden_remainder_x
      - .offset:         44
        .size:           2
        .value_kind:     hidden_remainder_y
      - .offset:         46
        .size:           2
        .value_kind:     hidden_remainder_z
      - .offset:         64
        .size:           8
        .value_kind:     hidden_global_offset_x
      - .offset:         72
        .size:           8
        .value_kind:     hidden_global_offset_y
      - .offset:         80
        .size:           8
        .value_kind:     hidden_global_offset_z
      - .offset:         88
        .size:           2
        .value_kind:     hidden_grid_dims
    .group_segment_fixed_size: 0
    .kernarg_segment_align: 8
    .kernarg_segment_size: 280
    .language:       OpenCL C
    .language_version:
      - 2
      - 0
    .max_flat_workgroup_size: 128
    .name:           _Z6kernelI14inclusive_scandLj128ELj64ELj100EEvPKT0_PS1_S1_
    .private_segment_fixed_size: 0
    .sgpr_count:     19
    .sgpr_spill_count: 0
    .symbol:         _Z6kernelI14inclusive_scandLj128ELj64ELj100EEvPKT0_PS1_S1_.kd
    .uniform_work_group_size: 1
    .uses_dynamic_stack: false
    .vgpr_count:     6
    .vgpr_spill_count: 0
    .wavefront_size: 64
  - .args:
      - .address_space:  global
        .offset:         0
        .size:           8
        .value_kind:     global_buffer
      - .address_space:  global
        .offset:         8
        .size:           8
        .value_kind:     global_buffer
      - .offset:         16
        .size:           8
        .value_kind:     by_value
      - .offset:         24
        .size:           4
        .value_kind:     hidden_block_count_x
      - .offset:         28
        .size:           4
        .value_kind:     hidden_block_count_y
      - .offset:         32
        .size:           4
        .value_kind:     hidden_block_count_z
      - .offset:         36
        .size:           2
        .value_kind:     hidden_group_size_x
      - .offset:         38
        .size:           2
        .value_kind:     hidden_group_size_y
      - .offset:         40
        .size:           2
        .value_kind:     hidden_group_size_z
      - .offset:         42
        .size:           2
        .value_kind:     hidden_remainder_x
      - .offset:         44
        .size:           2
        .value_kind:     hidden_remainder_y
      - .offset:         46
        .size:           2
        .value_kind:     hidden_remainder_z
      - .offset:         64
        .size:           8
        .value_kind:     hidden_global_offset_x
      - .offset:         72
        .size:           8
        .value_kind:     hidden_global_offset_y
      - .offset:         80
        .size:           8
        .value_kind:     hidden_global_offset_z
      - .offset:         88
        .size:           2
        .value_kind:     hidden_grid_dims
    .group_segment_fixed_size: 0
    .kernarg_segment_align: 8
    .kernarg_segment_size: 280
    .language:       OpenCL C
    .language_version:
      - 2
      - 0
    .max_flat_workgroup_size: 256
    .name:           _Z6kernelI14inclusive_scandLj256ELj64ELj100EEvPKT0_PS1_S1_
    .private_segment_fixed_size: 0
    .sgpr_count:     19
    .sgpr_spill_count: 0
    .symbol:         _Z6kernelI14inclusive_scandLj256ELj64ELj100EEvPKT0_PS1_S1_.kd
    .uniform_work_group_size: 1
    .uses_dynamic_stack: false
    .vgpr_count:     6
    .vgpr_spill_count: 0
    .wavefront_size: 64
  - .args:
      - .address_space:  global
        .offset:         0
        .size:           8
        .value_kind:     global_buffer
      - .address_space:  global
        .offset:         8
        .size:           8
        .value_kind:     global_buffer
      - .offset:         16
        .size:           1
        .value_kind:     by_value
      - .offset:         24
        .size:           4
        .value_kind:     hidden_block_count_x
      - .offset:         28
        .size:           4
        .value_kind:     hidden_block_count_y
      - .offset:         32
        .size:           4
        .value_kind:     hidden_block_count_z
      - .offset:         36
        .size:           2
        .value_kind:     hidden_group_size_x
      - .offset:         38
        .size:           2
        .value_kind:     hidden_group_size_y
      - .offset:         40
        .size:           2
        .value_kind:     hidden_group_size_z
      - .offset:         42
        .size:           2
        .value_kind:     hidden_remainder_x
      - .offset:         44
        .size:           2
        .value_kind:     hidden_remainder_y
      - .offset:         46
        .size:           2
        .value_kind:     hidden_remainder_z
      - .offset:         64
        .size:           8
        .value_kind:     hidden_global_offset_x
      - .offset:         72
        .size:           8
        .value_kind:     hidden_global_offset_y
      - .offset:         80
        .size:           8
        .value_kind:     hidden_global_offset_z
      - .offset:         88
        .size:           2
        .value_kind:     hidden_grid_dims
    .group_segment_fixed_size: 15
    .kernarg_segment_align: 8
    .kernarg_segment_size: 280
    .language:       OpenCL C
    .language_version:
      - 2
      - 0
    .max_flat_workgroup_size: 60
    .name:           _Z6kernelI14inclusive_scanaLj60ELj15ELj100EEvPKT0_PS1_S1_
    .private_segment_fixed_size: 0
    .sgpr_count:     16
    .sgpr_spill_count: 0
    .symbol:         _Z6kernelI14inclusive_scanaLj60ELj15ELj100EEvPKT0_PS1_S1_.kd
    .uniform_work_group_size: 1
    .uses_dynamic_stack: false
    .vgpr_count:     8
    .vgpr_spill_count: 0
    .wavefront_size: 64
  - .args:
      - .address_space:  global
        .offset:         0
        .size:           8
        .value_kind:     global_buffer
      - .address_space:  global
        .offset:         8
        .size:           8
        .value_kind:     global_buffer
      - .offset:         16
        .size:           1
        .value_kind:     by_value
      - .offset:         24
        .size:           4
        .value_kind:     hidden_block_count_x
      - .offset:         28
        .size:           4
        .value_kind:     hidden_block_count_y
      - .offset:         32
        .size:           4
        .value_kind:     hidden_block_count_z
      - .offset:         36
        .size:           2
        .value_kind:     hidden_group_size_x
      - .offset:         38
        .size:           2
        .value_kind:     hidden_group_size_y
      - .offset:         40
        .size:           2
        .value_kind:     hidden_group_size_z
      - .offset:         42
        .size:           2
        .value_kind:     hidden_remainder_x
      - .offset:         44
        .size:           2
        .value_kind:     hidden_remainder_y
      - .offset:         46
        .size:           2
        .value_kind:     hidden_remainder_z
      - .offset:         64
        .size:           8
        .value_kind:     hidden_global_offset_x
      - .offset:         72
        .size:           8
        .value_kind:     hidden_global_offset_y
      - .offset:         80
        .size:           8
        .value_kind:     hidden_global_offset_z
      - .offset:         88
        .size:           2
        .value_kind:     hidden_grid_dims
    .group_segment_fixed_size: 0
    .kernarg_segment_align: 8
    .kernarg_segment_size: 280
    .language:       OpenCL C
    .language_version:
      - 2
      - 0
    .max_flat_workgroup_size: 256
    .name:           _Z6kernelI14inclusive_scanaLj256ELj16ELj100EEvPKT0_PS1_S1_
    .private_segment_fixed_size: 0
    .sgpr_count:     16
    .sgpr_spill_count: 0
    .symbol:         _Z6kernelI14inclusive_scanaLj256ELj16ELj100EEvPKT0_PS1_S1_.kd
    .uniform_work_group_size: 1
    .uses_dynamic_stack: false
    .vgpr_count:     4
    .vgpr_spill_count: 0
    .wavefront_size: 64
  - .args:
      - .address_space:  global
        .offset:         0
        .size:           8
        .value_kind:     global_buffer
      - .address_space:  global
        .offset:         8
        .size:           8
        .value_kind:     global_buffer
      - .offset:         16
        .size:           1
        .value_kind:     by_value
      - .offset:         24
        .size:           4
        .value_kind:     hidden_block_count_x
      - .offset:         28
        .size:           4
        .value_kind:     hidden_block_count_y
      - .offset:         32
        .size:           4
        .value_kind:     hidden_block_count_z
      - .offset:         36
        .size:           2
        .value_kind:     hidden_group_size_x
      - .offset:         38
        .size:           2
        .value_kind:     hidden_group_size_y
      - .offset:         40
        .size:           2
        .value_kind:     hidden_group_size_z
      - .offset:         42
        .size:           2
        .value_kind:     hidden_remainder_x
      - .offset:         44
        .size:           2
        .value_kind:     hidden_remainder_y
      - .offset:         46
        .size:           2
        .value_kind:     hidden_remainder_z
      - .offset:         64
        .size:           8
        .value_kind:     hidden_global_offset_x
      - .offset:         72
        .size:           8
        .value_kind:     hidden_global_offset_y
      - .offset:         80
        .size:           8
        .value_kind:     hidden_global_offset_z
      - .offset:         88
        .size:           2
        .value_kind:     hidden_grid_dims
    .group_segment_fixed_size: 31
    .kernarg_segment_align: 8
    .kernarg_segment_size: 280
    .language:       OpenCL C
    .language_version:
      - 2
      - 0
    .max_flat_workgroup_size: 62
    .name:           _Z6kernelI14inclusive_scanaLj62ELj31ELj100EEvPKT0_PS1_S1_
    .private_segment_fixed_size: 0
    .sgpr_count:     17
    .sgpr_spill_count: 0
    .symbol:         _Z6kernelI14inclusive_scanaLj62ELj31ELj100EEvPKT0_PS1_S1_.kd
    .uniform_work_group_size: 1
    .uses_dynamic_stack: false
    .vgpr_count:     9
    .vgpr_spill_count: 0
    .wavefront_size: 64
  - .args:
      - .address_space:  global
        .offset:         0
        .size:           8
        .value_kind:     global_buffer
      - .address_space:  global
        .offset:         8
        .size:           8
        .value_kind:     global_buffer
      - .offset:         16
        .size:           1
        .value_kind:     by_value
      - .offset:         24
        .size:           4
        .value_kind:     hidden_block_count_x
      - .offset:         28
        .size:           4
        .value_kind:     hidden_block_count_y
      - .offset:         32
        .size:           4
        .value_kind:     hidden_block_count_z
      - .offset:         36
        .size:           2
        .value_kind:     hidden_group_size_x
      - .offset:         38
        .size:           2
        .value_kind:     hidden_group_size_y
      - .offset:         40
        .size:           2
        .value_kind:     hidden_group_size_z
      - .offset:         42
        .size:           2
        .value_kind:     hidden_remainder_x
      - .offset:         44
        .size:           2
        .value_kind:     hidden_remainder_y
      - .offset:         46
        .size:           2
        .value_kind:     hidden_remainder_z
      - .offset:         64
        .size:           8
        .value_kind:     hidden_global_offset_x
      - .offset:         72
        .size:           8
        .value_kind:     hidden_global_offset_y
      - .offset:         80
        .size:           8
        .value_kind:     hidden_global_offset_z
      - .offset:         88
        .size:           2
        .value_kind:     hidden_grid_dims
    .group_segment_fixed_size: 0
    .kernarg_segment_align: 8
    .kernarg_segment_size: 280
    .language:       OpenCL C
    .language_version:
      - 2
      - 0
    .max_flat_workgroup_size: 256
    .name:           _Z6kernelI14inclusive_scanaLj256ELj32ELj100EEvPKT0_PS1_S1_
    .private_segment_fixed_size: 0
    .sgpr_count:     16
    .sgpr_spill_count: 0
    .symbol:         _Z6kernelI14inclusive_scanaLj256ELj32ELj100EEvPKT0_PS1_S1_.kd
    .uniform_work_group_size: 1
    .uses_dynamic_stack: false
    .vgpr_count:     4
    .vgpr_spill_count: 0
    .wavefront_size: 64
  - .args:
      - .address_space:  global
        .offset:         0
        .size:           8
        .value_kind:     global_buffer
      - .address_space:  global
        .offset:         8
        .size:           8
        .value_kind:     global_buffer
      - .offset:         16
        .size:           1
        .value_kind:     by_value
      - .offset:         24
        .size:           4
        .value_kind:     hidden_block_count_x
      - .offset:         28
        .size:           4
        .value_kind:     hidden_block_count_y
      - .offset:         32
        .size:           4
        .value_kind:     hidden_block_count_z
      - .offset:         36
        .size:           2
        .value_kind:     hidden_group_size_x
      - .offset:         38
        .size:           2
        .value_kind:     hidden_group_size_y
      - .offset:         40
        .size:           2
        .value_kind:     hidden_group_size_z
      - .offset:         42
        .size:           2
        .value_kind:     hidden_remainder_x
      - .offset:         44
        .size:           2
        .value_kind:     hidden_remainder_y
      - .offset:         46
        .size:           2
        .value_kind:     hidden_remainder_z
      - .offset:         64
        .size:           8
        .value_kind:     hidden_global_offset_x
      - .offset:         72
        .size:           8
        .value_kind:     hidden_global_offset_y
      - .offset:         80
        .size:           8
        .value_kind:     hidden_global_offset_z
      - .offset:         88
        .size:           2
        .value_kind:     hidden_grid_dims
    .group_segment_fixed_size: 63
    .kernarg_segment_align: 8
    .kernarg_segment_size: 280
    .language:       OpenCL C
    .language_version:
      - 2
      - 0
    .max_flat_workgroup_size: 63
    .name:           _Z6kernelI14inclusive_scanaLj63ELj63ELj100EEvPKT0_PS1_S1_
    .private_segment_fixed_size: 0
    .sgpr_count:     19
    .sgpr_spill_count: 0
    .symbol:         _Z6kernelI14inclusive_scanaLj63ELj63ELj100EEvPKT0_PS1_S1_.kd
    .uniform_work_group_size: 1
    .uses_dynamic_stack: false
    .vgpr_count:     10
    .vgpr_spill_count: 0
    .wavefront_size: 64
  - .args:
      - .address_space:  global
        .offset:         0
        .size:           8
        .value_kind:     global_buffer
      - .address_space:  global
        .offset:         8
        .size:           8
        .value_kind:     global_buffer
      - .offset:         16
        .size:           1
        .value_kind:     by_value
      - .offset:         24
        .size:           4
        .value_kind:     hidden_block_count_x
      - .offset:         28
        .size:           4
        .value_kind:     hidden_block_count_y
      - .offset:         32
        .size:           4
        .value_kind:     hidden_block_count_z
      - .offset:         36
        .size:           2
        .value_kind:     hidden_group_size_x
      - .offset:         38
        .size:           2
        .value_kind:     hidden_group_size_y
      - .offset:         40
        .size:           2
        .value_kind:     hidden_group_size_z
      - .offset:         42
        .size:           2
        .value_kind:     hidden_remainder_x
      - .offset:         44
        .size:           2
        .value_kind:     hidden_remainder_y
      - .offset:         46
        .size:           2
        .value_kind:     hidden_remainder_z
      - .offset:         64
        .size:           8
        .value_kind:     hidden_global_offset_x
      - .offset:         72
        .size:           8
        .value_kind:     hidden_global_offset_y
      - .offset:         80
        .size:           8
        .value_kind:     hidden_global_offset_z
      - .offset:         88
        .size:           2
        .value_kind:     hidden_grid_dims
    .group_segment_fixed_size: 0
    .kernarg_segment_align: 8
    .kernarg_segment_size: 280
    .language:       OpenCL C
    .language_version:
      - 2
      - 0
    .max_flat_workgroup_size: 64
    .name:           _Z6kernelI14inclusive_scanaLj64ELj64ELj100EEvPKT0_PS1_S1_
    .private_segment_fixed_size: 0
    .sgpr_count:     17
    .sgpr_spill_count: 0
    .symbol:         _Z6kernelI14inclusive_scanaLj64ELj64ELj100EEvPKT0_PS1_S1_.kd
    .uniform_work_group_size: 1
    .uses_dynamic_stack: false
    .vgpr_count:     4
    .vgpr_spill_count: 0
    .wavefront_size: 64
  - .args:
      - .address_space:  global
        .offset:         0
        .size:           8
        .value_kind:     global_buffer
      - .address_space:  global
        .offset:         8
        .size:           8
        .value_kind:     global_buffer
      - .offset:         16
        .size:           1
        .value_kind:     by_value
      - .offset:         24
        .size:           4
        .value_kind:     hidden_block_count_x
      - .offset:         28
        .size:           4
        .value_kind:     hidden_block_count_y
      - .offset:         32
        .size:           4
        .value_kind:     hidden_block_count_z
      - .offset:         36
        .size:           2
        .value_kind:     hidden_group_size_x
      - .offset:         38
        .size:           2
        .value_kind:     hidden_group_size_y
      - .offset:         40
        .size:           2
        .value_kind:     hidden_group_size_z
      - .offset:         42
        .size:           2
        .value_kind:     hidden_remainder_x
      - .offset:         44
        .size:           2
        .value_kind:     hidden_remainder_y
      - .offset:         46
        .size:           2
        .value_kind:     hidden_remainder_z
      - .offset:         64
        .size:           8
        .value_kind:     hidden_global_offset_x
      - .offset:         72
        .size:           8
        .value_kind:     hidden_global_offset_y
      - .offset:         80
        .size:           8
        .value_kind:     hidden_global_offset_z
      - .offset:         88
        .size:           2
        .value_kind:     hidden_grid_dims
    .group_segment_fixed_size: 0
    .kernarg_segment_align: 8
    .kernarg_segment_size: 280
    .language:       OpenCL C
    .language_version:
      - 2
      - 0
    .max_flat_workgroup_size: 128
    .name:           _Z6kernelI14inclusive_scanaLj128ELj64ELj100EEvPKT0_PS1_S1_
    .private_segment_fixed_size: 0
    .sgpr_count:     17
    .sgpr_spill_count: 0
    .symbol:         _Z6kernelI14inclusive_scanaLj128ELj64ELj100EEvPKT0_PS1_S1_.kd
    .uniform_work_group_size: 1
    .uses_dynamic_stack: false
    .vgpr_count:     4
    .vgpr_spill_count: 0
    .wavefront_size: 64
  - .args:
      - .address_space:  global
        .offset:         0
        .size:           8
        .value_kind:     global_buffer
      - .address_space:  global
        .offset:         8
        .size:           8
        .value_kind:     global_buffer
      - .offset:         16
        .size:           1
        .value_kind:     by_value
      - .offset:         24
        .size:           4
        .value_kind:     hidden_block_count_x
      - .offset:         28
        .size:           4
        .value_kind:     hidden_block_count_y
      - .offset:         32
        .size:           4
        .value_kind:     hidden_block_count_z
      - .offset:         36
        .size:           2
        .value_kind:     hidden_group_size_x
      - .offset:         38
        .size:           2
        .value_kind:     hidden_group_size_y
      - .offset:         40
        .size:           2
        .value_kind:     hidden_group_size_z
      - .offset:         42
        .size:           2
        .value_kind:     hidden_remainder_x
      - .offset:         44
        .size:           2
        .value_kind:     hidden_remainder_y
      - .offset:         46
        .size:           2
        .value_kind:     hidden_remainder_z
      - .offset:         64
        .size:           8
        .value_kind:     hidden_global_offset_x
      - .offset:         72
        .size:           8
        .value_kind:     hidden_global_offset_y
      - .offset:         80
        .size:           8
        .value_kind:     hidden_global_offset_z
      - .offset:         88
        .size:           2
        .value_kind:     hidden_grid_dims
    .group_segment_fixed_size: 0
    .kernarg_segment_align: 8
    .kernarg_segment_size: 280
    .language:       OpenCL C
    .language_version:
      - 2
      - 0
    .max_flat_workgroup_size: 256
    .name:           _Z6kernelI14inclusive_scanaLj256ELj64ELj100EEvPKT0_PS1_S1_
    .private_segment_fixed_size: 0
    .sgpr_count:     17
    .sgpr_spill_count: 0
    .symbol:         _Z6kernelI14inclusive_scanaLj256ELj64ELj100EEvPKT0_PS1_S1_.kd
    .uniform_work_group_size: 1
    .uses_dynamic_stack: false
    .vgpr_count:     4
    .vgpr_spill_count: 0
    .wavefront_size: 64
  - .args:
      - .address_space:  global
        .offset:         0
        .size:           8
        .value_kind:     global_buffer
      - .address_space:  global
        .offset:         8
        .size:           8
        .value_kind:     global_buffer
      - .offset:         16
        .size:           16
        .value_kind:     by_value
      - .offset:         32
        .size:           4
        .value_kind:     hidden_block_count_x
      - .offset:         36
        .size:           4
        .value_kind:     hidden_block_count_y
      - .offset:         40
        .size:           4
        .value_kind:     hidden_block_count_z
      - .offset:         44
        .size:           2
        .value_kind:     hidden_group_size_x
      - .offset:         46
        .size:           2
        .value_kind:     hidden_group_size_y
      - .offset:         48
        .size:           2
        .value_kind:     hidden_group_size_z
      - .offset:         50
        .size:           2
        .value_kind:     hidden_remainder_x
      - .offset:         52
        .size:           2
        .value_kind:     hidden_remainder_y
      - .offset:         54
        .size:           2
        .value_kind:     hidden_remainder_z
      - .offset:         72
        .size:           8
        .value_kind:     hidden_global_offset_x
      - .offset:         80
        .size:           8
        .value_kind:     hidden_global_offset_y
      - .offset:         88
        .size:           8
        .value_kind:     hidden_global_offset_z
      - .offset:         96
        .size:           2
        .value_kind:     hidden_grid_dims
    .group_segment_fixed_size: 240
    .kernarg_segment_align: 8
    .kernarg_segment_size: 288
    .language:       OpenCL C
    .language_version:
      - 2
      - 0
    .max_flat_workgroup_size: 60
    .name:           _Z6kernelI14inclusive_scanN15benchmark_utils11custom_typeIddEELj60ELj15ELj100EEvPKT0_PS4_S4_
    .private_segment_fixed_size: 0
    .sgpr_count:     16
    .sgpr_spill_count: 0
    .symbol:         _Z6kernelI14inclusive_scanN15benchmark_utils11custom_typeIddEELj60ELj15ELj100EEvPKT0_PS4_S4_.kd
    .uniform_work_group_size: 1
    .uses_dynamic_stack: false
    .vgpr_count:     15
    .vgpr_spill_count: 0
    .wavefront_size: 64
  - .args:
      - .address_space:  global
        .offset:         0
        .size:           8
        .value_kind:     global_buffer
      - .address_space:  global
        .offset:         8
        .size:           8
        .value_kind:     global_buffer
      - .offset:         16
        .size:           16
        .value_kind:     by_value
      - .offset:         32
        .size:           4
        .value_kind:     hidden_block_count_x
      - .offset:         36
        .size:           4
        .value_kind:     hidden_block_count_y
      - .offset:         40
        .size:           4
        .value_kind:     hidden_block_count_z
      - .offset:         44
        .size:           2
        .value_kind:     hidden_group_size_x
      - .offset:         46
        .size:           2
        .value_kind:     hidden_group_size_y
      - .offset:         48
        .size:           2
        .value_kind:     hidden_group_size_z
      - .offset:         50
        .size:           2
        .value_kind:     hidden_remainder_x
      - .offset:         52
        .size:           2
        .value_kind:     hidden_remainder_y
      - .offset:         54
        .size:           2
        .value_kind:     hidden_remainder_z
      - .offset:         72
        .size:           8
        .value_kind:     hidden_global_offset_x
      - .offset:         80
        .size:           8
        .value_kind:     hidden_global_offset_y
      - .offset:         88
        .size:           8
        .value_kind:     hidden_global_offset_z
      - .offset:         96
        .size:           2
        .value_kind:     hidden_grid_dims
    .group_segment_fixed_size: 0
    .kernarg_segment_align: 8
    .kernarg_segment_size: 288
    .language:       OpenCL C
    .language_version:
      - 2
      - 0
    .max_flat_workgroup_size: 256
    .name:           _Z6kernelI14inclusive_scanN15benchmark_utils11custom_typeIddEELj256ELj16ELj100EEvPKT0_PS4_S4_
    .private_segment_fixed_size: 0
    .sgpr_count:     16
    .sgpr_spill_count: 0
    .symbol:         _Z6kernelI14inclusive_scanN15benchmark_utils11custom_typeIddEELj256ELj16ELj100EEvPKT0_PS4_S4_.kd
    .uniform_work_group_size: 1
    .uses_dynamic_stack: false
    .vgpr_count:     10
    .vgpr_spill_count: 0
    .wavefront_size: 64
  - .args:
      - .address_space:  global
        .offset:         0
        .size:           8
        .value_kind:     global_buffer
      - .address_space:  global
        .offset:         8
        .size:           8
        .value_kind:     global_buffer
      - .offset:         16
        .size:           16
        .value_kind:     by_value
      - .offset:         32
        .size:           4
        .value_kind:     hidden_block_count_x
      - .offset:         36
        .size:           4
        .value_kind:     hidden_block_count_y
      - .offset:         40
        .size:           4
        .value_kind:     hidden_block_count_z
      - .offset:         44
        .size:           2
        .value_kind:     hidden_group_size_x
      - .offset:         46
        .size:           2
        .value_kind:     hidden_group_size_y
      - .offset:         48
        .size:           2
        .value_kind:     hidden_group_size_z
      - .offset:         50
        .size:           2
        .value_kind:     hidden_remainder_x
      - .offset:         52
        .size:           2
        .value_kind:     hidden_remainder_y
      - .offset:         54
        .size:           2
        .value_kind:     hidden_remainder_z
      - .offset:         72
        .size:           8
        .value_kind:     hidden_global_offset_x
      - .offset:         80
        .size:           8
        .value_kind:     hidden_global_offset_y
      - .offset:         88
        .size:           8
        .value_kind:     hidden_global_offset_z
      - .offset:         96
        .size:           2
        .value_kind:     hidden_grid_dims
    .group_segment_fixed_size: 496
    .kernarg_segment_align: 8
    .kernarg_segment_size: 288
    .language:       OpenCL C
    .language_version:
      - 2
      - 0
    .max_flat_workgroup_size: 62
    .name:           _Z6kernelI14inclusive_scanN15benchmark_utils11custom_typeIddEELj62ELj31ELj100EEvPKT0_PS4_S4_
    .private_segment_fixed_size: 0
    .sgpr_count:     17
    .sgpr_spill_count: 0
    .symbol:         _Z6kernelI14inclusive_scanN15benchmark_utils11custom_typeIddEELj62ELj31ELj100EEvPKT0_PS4_S4_.kd
    .uniform_work_group_size: 1
    .uses_dynamic_stack: false
    .vgpr_count:     16
    .vgpr_spill_count: 0
    .wavefront_size: 64
  - .args:
      - .address_space:  global
        .offset:         0
        .size:           8
        .value_kind:     global_buffer
      - .address_space:  global
        .offset:         8
        .size:           8
        .value_kind:     global_buffer
      - .offset:         16
        .size:           16
        .value_kind:     by_value
      - .offset:         32
        .size:           4
        .value_kind:     hidden_block_count_x
      - .offset:         36
        .size:           4
        .value_kind:     hidden_block_count_y
      - .offset:         40
        .size:           4
        .value_kind:     hidden_block_count_z
      - .offset:         44
        .size:           2
        .value_kind:     hidden_group_size_x
      - .offset:         46
        .size:           2
        .value_kind:     hidden_group_size_y
      - .offset:         48
        .size:           2
        .value_kind:     hidden_group_size_z
      - .offset:         50
        .size:           2
        .value_kind:     hidden_remainder_x
      - .offset:         52
        .size:           2
        .value_kind:     hidden_remainder_y
      - .offset:         54
        .size:           2
        .value_kind:     hidden_remainder_z
      - .offset:         72
        .size:           8
        .value_kind:     hidden_global_offset_x
      - .offset:         80
        .size:           8
        .value_kind:     hidden_global_offset_y
      - .offset:         88
        .size:           8
        .value_kind:     hidden_global_offset_z
      - .offset:         96
        .size:           2
        .value_kind:     hidden_grid_dims
    .group_segment_fixed_size: 0
    .kernarg_segment_align: 8
    .kernarg_segment_size: 288
    .language:       OpenCL C
    .language_version:
      - 2
      - 0
    .max_flat_workgroup_size: 256
    .name:           _Z6kernelI14inclusive_scanN15benchmark_utils11custom_typeIddEELj256ELj32ELj100EEvPKT0_PS4_S4_
    .private_segment_fixed_size: 0
    .sgpr_count:     17
    .sgpr_spill_count: 0
    .symbol:         _Z6kernelI14inclusive_scanN15benchmark_utils11custom_typeIddEELj256ELj32ELj100EEvPKT0_PS4_S4_.kd
    .uniform_work_group_size: 1
    .uses_dynamic_stack: false
    .vgpr_count:     10
    .vgpr_spill_count: 0
    .wavefront_size: 64
  - .args:
      - .address_space:  global
        .offset:         0
        .size:           8
        .value_kind:     global_buffer
      - .address_space:  global
        .offset:         8
        .size:           8
        .value_kind:     global_buffer
      - .offset:         16
        .size:           16
        .value_kind:     by_value
      - .offset:         32
        .size:           4
        .value_kind:     hidden_block_count_x
      - .offset:         36
        .size:           4
        .value_kind:     hidden_block_count_y
      - .offset:         40
        .size:           4
        .value_kind:     hidden_block_count_z
      - .offset:         44
        .size:           2
        .value_kind:     hidden_group_size_x
      - .offset:         46
        .size:           2
        .value_kind:     hidden_group_size_y
      - .offset:         48
        .size:           2
        .value_kind:     hidden_group_size_z
      - .offset:         50
        .size:           2
        .value_kind:     hidden_remainder_x
      - .offset:         52
        .size:           2
        .value_kind:     hidden_remainder_y
      - .offset:         54
        .size:           2
        .value_kind:     hidden_remainder_z
      - .offset:         72
        .size:           8
        .value_kind:     hidden_global_offset_x
      - .offset:         80
        .size:           8
        .value_kind:     hidden_global_offset_y
      - .offset:         88
        .size:           8
        .value_kind:     hidden_global_offset_z
      - .offset:         96
        .size:           2
        .value_kind:     hidden_grid_dims
    .group_segment_fixed_size: 1008
    .kernarg_segment_align: 8
    .kernarg_segment_size: 288
    .language:       OpenCL C
    .language_version:
      - 2
      - 0
    .max_flat_workgroup_size: 63
    .name:           _Z6kernelI14inclusive_scanN15benchmark_utils11custom_typeIddEELj63ELj63ELj100EEvPKT0_PS4_S4_
    .private_segment_fixed_size: 0
    .sgpr_count:     19
    .sgpr_spill_count: 0
    .symbol:         _Z6kernelI14inclusive_scanN15benchmark_utils11custom_typeIddEELj63ELj63ELj100EEvPKT0_PS4_S4_.kd
    .uniform_work_group_size: 1
    .uses_dynamic_stack: false
    .vgpr_count:     17
    .vgpr_spill_count: 0
    .wavefront_size: 64
  - .args:
      - .address_space:  global
        .offset:         0
        .size:           8
        .value_kind:     global_buffer
      - .address_space:  global
        .offset:         8
        .size:           8
        .value_kind:     global_buffer
      - .offset:         16
        .size:           16
        .value_kind:     by_value
      - .offset:         32
        .size:           4
        .value_kind:     hidden_block_count_x
      - .offset:         36
        .size:           4
        .value_kind:     hidden_block_count_y
      - .offset:         40
        .size:           4
        .value_kind:     hidden_block_count_z
      - .offset:         44
        .size:           2
        .value_kind:     hidden_group_size_x
      - .offset:         46
        .size:           2
        .value_kind:     hidden_group_size_y
      - .offset:         48
        .size:           2
        .value_kind:     hidden_group_size_z
      - .offset:         50
        .size:           2
        .value_kind:     hidden_remainder_x
      - .offset:         52
        .size:           2
        .value_kind:     hidden_remainder_y
      - .offset:         54
        .size:           2
        .value_kind:     hidden_remainder_z
      - .offset:         72
        .size:           8
        .value_kind:     hidden_global_offset_x
      - .offset:         80
        .size:           8
        .value_kind:     hidden_global_offset_y
      - .offset:         88
        .size:           8
        .value_kind:     hidden_global_offset_z
      - .offset:         96
        .size:           2
        .value_kind:     hidden_grid_dims
    .group_segment_fixed_size: 0
    .kernarg_segment_align: 8
    .kernarg_segment_size: 288
    .language:       OpenCL C
    .language_version:
      - 2
      - 0
    .max_flat_workgroup_size: 64
    .name:           _Z6kernelI14inclusive_scanN15benchmark_utils11custom_typeIddEELj64ELj64ELj100EEvPKT0_PS4_S4_
    .private_segment_fixed_size: 0
    .sgpr_count:     19
    .sgpr_spill_count: 0
    .symbol:         _Z6kernelI14inclusive_scanN15benchmark_utils11custom_typeIddEELj64ELj64ELj100EEvPKT0_PS4_S4_.kd
    .uniform_work_group_size: 1
    .uses_dynamic_stack: false
    .vgpr_count:     10
    .vgpr_spill_count: 0
    .wavefront_size: 64
  - .args:
      - .address_space:  global
        .offset:         0
        .size:           8
        .value_kind:     global_buffer
      - .address_space:  global
        .offset:         8
        .size:           8
        .value_kind:     global_buffer
      - .offset:         16
        .size:           16
        .value_kind:     by_value
      - .offset:         32
        .size:           4
        .value_kind:     hidden_block_count_x
      - .offset:         36
        .size:           4
        .value_kind:     hidden_block_count_y
      - .offset:         40
        .size:           4
        .value_kind:     hidden_block_count_z
      - .offset:         44
        .size:           2
        .value_kind:     hidden_group_size_x
      - .offset:         46
        .size:           2
        .value_kind:     hidden_group_size_y
      - .offset:         48
        .size:           2
        .value_kind:     hidden_group_size_z
      - .offset:         50
        .size:           2
        .value_kind:     hidden_remainder_x
      - .offset:         52
        .size:           2
        .value_kind:     hidden_remainder_y
      - .offset:         54
        .size:           2
        .value_kind:     hidden_remainder_z
      - .offset:         72
        .size:           8
        .value_kind:     hidden_global_offset_x
      - .offset:         80
        .size:           8
        .value_kind:     hidden_global_offset_y
      - .offset:         88
        .size:           8
        .value_kind:     hidden_global_offset_z
      - .offset:         96
        .size:           2
        .value_kind:     hidden_grid_dims
    .group_segment_fixed_size: 0
    .kernarg_segment_align: 8
    .kernarg_segment_size: 288
    .language:       OpenCL C
    .language_version:
      - 2
      - 0
    .max_flat_workgroup_size: 128
    .name:           _Z6kernelI14inclusive_scanN15benchmark_utils11custom_typeIddEELj128ELj64ELj100EEvPKT0_PS4_S4_
    .private_segment_fixed_size: 0
    .sgpr_count:     19
    .sgpr_spill_count: 0
    .symbol:         _Z6kernelI14inclusive_scanN15benchmark_utils11custom_typeIddEELj128ELj64ELj100EEvPKT0_PS4_S4_.kd
    .uniform_work_group_size: 1
    .uses_dynamic_stack: false
    .vgpr_count:     10
    .vgpr_spill_count: 0
    .wavefront_size: 64
  - .args:
      - .address_space:  global
        .offset:         0
        .size:           8
        .value_kind:     global_buffer
      - .address_space:  global
        .offset:         8
        .size:           8
        .value_kind:     global_buffer
      - .offset:         16
        .size:           16
        .value_kind:     by_value
      - .offset:         32
        .size:           4
        .value_kind:     hidden_block_count_x
      - .offset:         36
        .size:           4
        .value_kind:     hidden_block_count_y
      - .offset:         40
        .size:           4
        .value_kind:     hidden_block_count_z
      - .offset:         44
        .size:           2
        .value_kind:     hidden_group_size_x
      - .offset:         46
        .size:           2
        .value_kind:     hidden_group_size_y
      - .offset:         48
        .size:           2
        .value_kind:     hidden_group_size_z
      - .offset:         50
        .size:           2
        .value_kind:     hidden_remainder_x
      - .offset:         52
        .size:           2
        .value_kind:     hidden_remainder_y
      - .offset:         54
        .size:           2
        .value_kind:     hidden_remainder_z
      - .offset:         72
        .size:           8
        .value_kind:     hidden_global_offset_x
      - .offset:         80
        .size:           8
        .value_kind:     hidden_global_offset_y
      - .offset:         88
        .size:           8
        .value_kind:     hidden_global_offset_z
      - .offset:         96
        .size:           2
        .value_kind:     hidden_grid_dims
    .group_segment_fixed_size: 0
    .kernarg_segment_align: 8
    .kernarg_segment_size: 288
    .language:       OpenCL C
    .language_version:
      - 2
      - 0
    .max_flat_workgroup_size: 256
    .name:           _Z6kernelI14inclusive_scanN15benchmark_utils11custom_typeIddEELj256ELj64ELj100EEvPKT0_PS4_S4_
    .private_segment_fixed_size: 0
    .sgpr_count:     19
    .sgpr_spill_count: 0
    .symbol:         _Z6kernelI14inclusive_scanN15benchmark_utils11custom_typeIddEELj256ELj64ELj100EEvPKT0_PS4_S4_.kd
    .uniform_work_group_size: 1
    .uses_dynamic_stack: false
    .vgpr_count:     10
    .vgpr_spill_count: 0
    .wavefront_size: 64
  - .args:
      - .address_space:  global
        .offset:         0
        .size:           8
        .value_kind:     global_buffer
      - .address_space:  global
        .offset:         8
        .size:           8
        .value_kind:     global_buffer
      - .offset:         16
        .size:           16
        .value_kind:     by_value
      - .offset:         32
        .size:           4
        .value_kind:     hidden_block_count_x
      - .offset:         36
        .size:           4
        .value_kind:     hidden_block_count_y
      - .offset:         40
        .size:           4
        .value_kind:     hidden_block_count_z
      - .offset:         44
        .size:           2
        .value_kind:     hidden_group_size_x
      - .offset:         46
        .size:           2
        .value_kind:     hidden_group_size_y
      - .offset:         48
        .size:           2
        .value_kind:     hidden_group_size_z
      - .offset:         50
        .size:           2
        .value_kind:     hidden_remainder_x
      - .offset:         52
        .size:           2
        .value_kind:     hidden_remainder_y
      - .offset:         54
        .size:           2
        .value_kind:     hidden_remainder_z
      - .offset:         72
        .size:           8
        .value_kind:     hidden_global_offset_x
      - .offset:         80
        .size:           8
        .value_kind:     hidden_global_offset_y
      - .offset:         88
        .size:           8
        .value_kind:     hidden_global_offset_z
      - .offset:         96
        .size:           2
        .value_kind:     hidden_grid_dims
    .group_segment_fixed_size: 240
    .kernarg_segment_align: 8
    .kernarg_segment_size: 288
    .language:       OpenCL C
    .language_version:
      - 2
      - 0
    .max_flat_workgroup_size: 60
    .name:           _Z6kernelI14inclusive_scanN15benchmark_utils11custom_typeIidEELj60ELj15ELj100EEvPKT0_PS4_S4_
    .private_segment_fixed_size: 0
    .sgpr_count:     16
    .sgpr_spill_count: 0
    .symbol:         _Z6kernelI14inclusive_scanN15benchmark_utils11custom_typeIidEELj60ELj15ELj100EEvPKT0_PS4_S4_.kd
    .uniform_work_group_size: 1
    .uses_dynamic_stack: false
    .vgpr_count:     16
    .vgpr_spill_count: 0
    .wavefront_size: 64
  - .args:
      - .address_space:  global
        .offset:         0
        .size:           8
        .value_kind:     global_buffer
      - .address_space:  global
        .offset:         8
        .size:           8
        .value_kind:     global_buffer
      - .offset:         16
        .size:           16
        .value_kind:     by_value
      - .offset:         32
        .size:           4
        .value_kind:     hidden_block_count_x
      - .offset:         36
        .size:           4
        .value_kind:     hidden_block_count_y
      - .offset:         40
        .size:           4
        .value_kind:     hidden_block_count_z
      - .offset:         44
        .size:           2
        .value_kind:     hidden_group_size_x
      - .offset:         46
        .size:           2
        .value_kind:     hidden_group_size_y
      - .offset:         48
        .size:           2
        .value_kind:     hidden_group_size_z
      - .offset:         50
        .size:           2
        .value_kind:     hidden_remainder_x
      - .offset:         52
        .size:           2
        .value_kind:     hidden_remainder_y
      - .offset:         54
        .size:           2
        .value_kind:     hidden_remainder_z
      - .offset:         72
        .size:           8
        .value_kind:     hidden_global_offset_x
      - .offset:         80
        .size:           8
        .value_kind:     hidden_global_offset_y
      - .offset:         88
        .size:           8
        .value_kind:     hidden_global_offset_z
      - .offset:         96
        .size:           2
        .value_kind:     hidden_grid_dims
    .group_segment_fixed_size: 0
    .kernarg_segment_align: 8
    .kernarg_segment_size: 288
    .language:       OpenCL C
    .language_version:
      - 2
      - 0
    .max_flat_workgroup_size: 256
    .name:           _Z6kernelI14inclusive_scanN15benchmark_utils11custom_typeIidEELj256ELj16ELj100EEvPKT0_PS4_S4_
    .private_segment_fixed_size: 0
    .sgpr_count:     16
    .sgpr_spill_count: 0
    .symbol:         _Z6kernelI14inclusive_scanN15benchmark_utils11custom_typeIidEELj256ELj16ELj100EEvPKT0_PS4_S4_.kd
    .uniform_work_group_size: 1
    .uses_dynamic_stack: false
    .vgpr_count:     8
    .vgpr_spill_count: 0
    .wavefront_size: 64
  - .args:
      - .address_space:  global
        .offset:         0
        .size:           8
        .value_kind:     global_buffer
      - .address_space:  global
        .offset:         8
        .size:           8
        .value_kind:     global_buffer
      - .offset:         16
        .size:           16
        .value_kind:     by_value
      - .offset:         32
        .size:           4
        .value_kind:     hidden_block_count_x
      - .offset:         36
        .size:           4
        .value_kind:     hidden_block_count_y
      - .offset:         40
        .size:           4
        .value_kind:     hidden_block_count_z
      - .offset:         44
        .size:           2
        .value_kind:     hidden_group_size_x
      - .offset:         46
        .size:           2
        .value_kind:     hidden_group_size_y
      - .offset:         48
        .size:           2
        .value_kind:     hidden_group_size_z
      - .offset:         50
        .size:           2
        .value_kind:     hidden_remainder_x
      - .offset:         52
        .size:           2
        .value_kind:     hidden_remainder_y
      - .offset:         54
        .size:           2
        .value_kind:     hidden_remainder_z
      - .offset:         72
        .size:           8
        .value_kind:     hidden_global_offset_x
      - .offset:         80
        .size:           8
        .value_kind:     hidden_global_offset_y
      - .offset:         88
        .size:           8
        .value_kind:     hidden_global_offset_z
      - .offset:         96
        .size:           2
        .value_kind:     hidden_grid_dims
    .group_segment_fixed_size: 496
    .kernarg_segment_align: 8
    .kernarg_segment_size: 288
    .language:       OpenCL C
    .language_version:
      - 2
      - 0
    .max_flat_workgroup_size: 62
    .name:           _Z6kernelI14inclusive_scanN15benchmark_utils11custom_typeIidEELj62ELj31ELj100EEvPKT0_PS4_S4_
    .private_segment_fixed_size: 0
    .sgpr_count:     17
    .sgpr_spill_count: 0
    .symbol:         _Z6kernelI14inclusive_scanN15benchmark_utils11custom_typeIidEELj62ELj31ELj100EEvPKT0_PS4_S4_.kd
    .uniform_work_group_size: 1
    .uses_dynamic_stack: false
    .vgpr_count:     18
    .vgpr_spill_count: 0
    .wavefront_size: 64
  - .args:
      - .address_space:  global
        .offset:         0
        .size:           8
        .value_kind:     global_buffer
      - .address_space:  global
        .offset:         8
        .size:           8
        .value_kind:     global_buffer
      - .offset:         16
        .size:           16
        .value_kind:     by_value
      - .offset:         32
        .size:           4
        .value_kind:     hidden_block_count_x
      - .offset:         36
        .size:           4
        .value_kind:     hidden_block_count_y
      - .offset:         40
        .size:           4
        .value_kind:     hidden_block_count_z
      - .offset:         44
        .size:           2
        .value_kind:     hidden_group_size_x
      - .offset:         46
        .size:           2
        .value_kind:     hidden_group_size_y
      - .offset:         48
        .size:           2
        .value_kind:     hidden_group_size_z
      - .offset:         50
        .size:           2
        .value_kind:     hidden_remainder_x
      - .offset:         52
        .size:           2
        .value_kind:     hidden_remainder_y
      - .offset:         54
        .size:           2
        .value_kind:     hidden_remainder_z
      - .offset:         72
        .size:           8
        .value_kind:     hidden_global_offset_x
      - .offset:         80
        .size:           8
        .value_kind:     hidden_global_offset_y
      - .offset:         88
        .size:           8
        .value_kind:     hidden_global_offset_z
      - .offset:         96
        .size:           2
        .value_kind:     hidden_grid_dims
    .group_segment_fixed_size: 0
    .kernarg_segment_align: 8
    .kernarg_segment_size: 288
    .language:       OpenCL C
    .language_version:
      - 2
      - 0
    .max_flat_workgroup_size: 256
    .name:           _Z6kernelI14inclusive_scanN15benchmark_utils11custom_typeIidEELj256ELj32ELj100EEvPKT0_PS4_S4_
    .private_segment_fixed_size: 0
    .sgpr_count:     17
    .sgpr_spill_count: 0
    .symbol:         _Z6kernelI14inclusive_scanN15benchmark_utils11custom_typeIidEELj256ELj32ELj100EEvPKT0_PS4_S4_.kd
    .uniform_work_group_size: 1
    .uses_dynamic_stack: false
    .vgpr_count:     8
    .vgpr_spill_count: 0
    .wavefront_size: 64
  - .args:
      - .address_space:  global
        .offset:         0
        .size:           8
        .value_kind:     global_buffer
      - .address_space:  global
        .offset:         8
        .size:           8
        .value_kind:     global_buffer
      - .offset:         16
        .size:           16
        .value_kind:     by_value
      - .offset:         32
        .size:           4
        .value_kind:     hidden_block_count_x
      - .offset:         36
        .size:           4
        .value_kind:     hidden_block_count_y
      - .offset:         40
        .size:           4
        .value_kind:     hidden_block_count_z
      - .offset:         44
        .size:           2
        .value_kind:     hidden_group_size_x
      - .offset:         46
        .size:           2
        .value_kind:     hidden_group_size_y
      - .offset:         48
        .size:           2
        .value_kind:     hidden_group_size_z
      - .offset:         50
        .size:           2
        .value_kind:     hidden_remainder_x
      - .offset:         52
        .size:           2
        .value_kind:     hidden_remainder_y
      - .offset:         54
        .size:           2
        .value_kind:     hidden_remainder_z
      - .offset:         72
        .size:           8
        .value_kind:     hidden_global_offset_x
      - .offset:         80
        .size:           8
        .value_kind:     hidden_global_offset_y
      - .offset:         88
        .size:           8
        .value_kind:     hidden_global_offset_z
      - .offset:         96
        .size:           2
        .value_kind:     hidden_grid_dims
    .group_segment_fixed_size: 1008
    .kernarg_segment_align: 8
    .kernarg_segment_size: 288
    .language:       OpenCL C
    .language_version:
      - 2
      - 0
    .max_flat_workgroup_size: 63
    .name:           _Z6kernelI14inclusive_scanN15benchmark_utils11custom_typeIidEELj63ELj63ELj100EEvPKT0_PS4_S4_
    .private_segment_fixed_size: 0
    .sgpr_count:     19
    .sgpr_spill_count: 0
    .symbol:         _Z6kernelI14inclusive_scanN15benchmark_utils11custom_typeIidEELj63ELj63ELj100EEvPKT0_PS4_S4_.kd
    .uniform_work_group_size: 1
    .uses_dynamic_stack: false
    .vgpr_count:     20
    .vgpr_spill_count: 0
    .wavefront_size: 64
  - .args:
      - .address_space:  global
        .offset:         0
        .size:           8
        .value_kind:     global_buffer
      - .address_space:  global
        .offset:         8
        .size:           8
        .value_kind:     global_buffer
      - .offset:         16
        .size:           16
        .value_kind:     by_value
      - .offset:         32
        .size:           4
        .value_kind:     hidden_block_count_x
      - .offset:         36
        .size:           4
        .value_kind:     hidden_block_count_y
      - .offset:         40
        .size:           4
        .value_kind:     hidden_block_count_z
      - .offset:         44
        .size:           2
        .value_kind:     hidden_group_size_x
      - .offset:         46
        .size:           2
        .value_kind:     hidden_group_size_y
      - .offset:         48
        .size:           2
        .value_kind:     hidden_group_size_z
      - .offset:         50
        .size:           2
        .value_kind:     hidden_remainder_x
      - .offset:         52
        .size:           2
        .value_kind:     hidden_remainder_y
      - .offset:         54
        .size:           2
        .value_kind:     hidden_remainder_z
      - .offset:         72
        .size:           8
        .value_kind:     hidden_global_offset_x
      - .offset:         80
        .size:           8
        .value_kind:     hidden_global_offset_y
      - .offset:         88
        .size:           8
        .value_kind:     hidden_global_offset_z
      - .offset:         96
        .size:           2
        .value_kind:     hidden_grid_dims
    .group_segment_fixed_size: 0
    .kernarg_segment_align: 8
    .kernarg_segment_size: 288
    .language:       OpenCL C
    .language_version:
      - 2
      - 0
    .max_flat_workgroup_size: 64
    .name:           _Z6kernelI14inclusive_scanN15benchmark_utils11custom_typeIidEELj64ELj64ELj100EEvPKT0_PS4_S4_
    .private_segment_fixed_size: 0
    .sgpr_count:     19
    .sgpr_spill_count: 0
    .symbol:         _Z6kernelI14inclusive_scanN15benchmark_utils11custom_typeIidEELj64ELj64ELj100EEvPKT0_PS4_S4_.kd
    .uniform_work_group_size: 1
    .uses_dynamic_stack: false
    .vgpr_count:     8
    .vgpr_spill_count: 0
    .wavefront_size: 64
  - .args:
      - .address_space:  global
        .offset:         0
        .size:           8
        .value_kind:     global_buffer
      - .address_space:  global
        .offset:         8
        .size:           8
        .value_kind:     global_buffer
      - .offset:         16
        .size:           16
        .value_kind:     by_value
      - .offset:         32
        .size:           4
        .value_kind:     hidden_block_count_x
      - .offset:         36
        .size:           4
        .value_kind:     hidden_block_count_y
      - .offset:         40
        .size:           4
        .value_kind:     hidden_block_count_z
      - .offset:         44
        .size:           2
        .value_kind:     hidden_group_size_x
      - .offset:         46
        .size:           2
        .value_kind:     hidden_group_size_y
      - .offset:         48
        .size:           2
        .value_kind:     hidden_group_size_z
      - .offset:         50
        .size:           2
        .value_kind:     hidden_remainder_x
      - .offset:         52
        .size:           2
        .value_kind:     hidden_remainder_y
      - .offset:         54
        .size:           2
        .value_kind:     hidden_remainder_z
      - .offset:         72
        .size:           8
        .value_kind:     hidden_global_offset_x
      - .offset:         80
        .size:           8
        .value_kind:     hidden_global_offset_y
      - .offset:         88
        .size:           8
        .value_kind:     hidden_global_offset_z
      - .offset:         96
        .size:           2
        .value_kind:     hidden_grid_dims
    .group_segment_fixed_size: 0
    .kernarg_segment_align: 8
    .kernarg_segment_size: 288
    .language:       OpenCL C
    .language_version:
      - 2
      - 0
    .max_flat_workgroup_size: 128
    .name:           _Z6kernelI14inclusive_scanN15benchmark_utils11custom_typeIidEELj128ELj64ELj100EEvPKT0_PS4_S4_
    .private_segment_fixed_size: 0
    .sgpr_count:     19
    .sgpr_spill_count: 0
    .symbol:         _Z6kernelI14inclusive_scanN15benchmark_utils11custom_typeIidEELj128ELj64ELj100EEvPKT0_PS4_S4_.kd
    .uniform_work_group_size: 1
    .uses_dynamic_stack: false
    .vgpr_count:     8
    .vgpr_spill_count: 0
    .wavefront_size: 64
  - .args:
      - .address_space:  global
        .offset:         0
        .size:           8
        .value_kind:     global_buffer
      - .address_space:  global
        .offset:         8
        .size:           8
        .value_kind:     global_buffer
      - .offset:         16
        .size:           16
        .value_kind:     by_value
      - .offset:         32
        .size:           4
        .value_kind:     hidden_block_count_x
      - .offset:         36
        .size:           4
        .value_kind:     hidden_block_count_y
      - .offset:         40
        .size:           4
        .value_kind:     hidden_block_count_z
      - .offset:         44
        .size:           2
        .value_kind:     hidden_group_size_x
      - .offset:         46
        .size:           2
        .value_kind:     hidden_group_size_y
      - .offset:         48
        .size:           2
        .value_kind:     hidden_group_size_z
      - .offset:         50
        .size:           2
        .value_kind:     hidden_remainder_x
      - .offset:         52
        .size:           2
        .value_kind:     hidden_remainder_y
      - .offset:         54
        .size:           2
        .value_kind:     hidden_remainder_z
      - .offset:         72
        .size:           8
        .value_kind:     hidden_global_offset_x
      - .offset:         80
        .size:           8
        .value_kind:     hidden_global_offset_y
      - .offset:         88
        .size:           8
        .value_kind:     hidden_global_offset_z
      - .offset:         96
        .size:           2
        .value_kind:     hidden_grid_dims
    .group_segment_fixed_size: 0
    .kernarg_segment_align: 8
    .kernarg_segment_size: 288
    .language:       OpenCL C
    .language_version:
      - 2
      - 0
    .max_flat_workgroup_size: 256
    .name:           _Z6kernelI14inclusive_scanN15benchmark_utils11custom_typeIidEELj256ELj64ELj100EEvPKT0_PS4_S4_
    .private_segment_fixed_size: 0
    .sgpr_count:     19
    .sgpr_spill_count: 0
    .symbol:         _Z6kernelI14inclusive_scanN15benchmark_utils11custom_typeIidEELj256ELj64ELj100EEvPKT0_PS4_S4_.kd
    .uniform_work_group_size: 1
    .uses_dynamic_stack: false
    .vgpr_count:     8
    .vgpr_spill_count: 0
    .wavefront_size: 64
  - .args:
      - .address_space:  global
        .offset:         0
        .size:           8
        .value_kind:     global_buffer
      - .address_space:  global
        .offset:         8
        .size:           8
        .value_kind:     global_buffer
      - .offset:         16
        .size:           4
        .value_kind:     by_value
      - .offset:         24
        .size:           4
        .value_kind:     hidden_block_count_x
      - .offset:         28
        .size:           4
        .value_kind:     hidden_block_count_y
      - .offset:         32
        .size:           4
        .value_kind:     hidden_block_count_z
      - .offset:         36
        .size:           2
        .value_kind:     hidden_group_size_x
      - .offset:         38
        .size:           2
        .value_kind:     hidden_group_size_y
      - .offset:         40
        .size:           2
        .value_kind:     hidden_group_size_z
      - .offset:         42
        .size:           2
        .value_kind:     hidden_remainder_x
      - .offset:         44
        .size:           2
        .value_kind:     hidden_remainder_y
      - .offset:         46
        .size:           2
        .value_kind:     hidden_remainder_z
      - .offset:         64
        .size:           8
        .value_kind:     hidden_global_offset_x
      - .offset:         72
        .size:           8
        .value_kind:     hidden_global_offset_y
      - .offset:         80
        .size:           8
        .value_kind:     hidden_global_offset_z
      - .offset:         88
        .size:           2
        .value_kind:     hidden_grid_dims
    .group_segment_fixed_size: 60
    .kernarg_segment_align: 8
    .kernarg_segment_size: 280
    .language:       OpenCL C
    .language_version:
      - 2
      - 0
    .max_flat_workgroup_size: 60
    .name:           _Z6kernelI14exclusive_scaniLj60ELj15ELj100EEvPKT0_PS1_S1_
    .private_segment_fixed_size: 0
    .sgpr_count:     17
    .sgpr_spill_count: 0
    .symbol:         _Z6kernelI14exclusive_scaniLj60ELj15ELj100EEvPKT0_PS1_S1_.kd
    .uniform_work_group_size: 1
    .uses_dynamic_stack: false
    .vgpr_count:     9
    .vgpr_spill_count: 0
    .wavefront_size: 64
  - .args:
      - .address_space:  global
        .offset:         0
        .size:           8
        .value_kind:     global_buffer
      - .address_space:  global
        .offset:         8
        .size:           8
        .value_kind:     global_buffer
      - .offset:         16
        .size:           4
        .value_kind:     by_value
      - .offset:         24
        .size:           4
        .value_kind:     hidden_block_count_x
      - .offset:         28
        .size:           4
        .value_kind:     hidden_block_count_y
      - .offset:         32
        .size:           4
        .value_kind:     hidden_block_count_z
      - .offset:         36
        .size:           2
        .value_kind:     hidden_group_size_x
      - .offset:         38
        .size:           2
        .value_kind:     hidden_group_size_y
      - .offset:         40
        .size:           2
        .value_kind:     hidden_group_size_z
      - .offset:         42
        .size:           2
        .value_kind:     hidden_remainder_x
      - .offset:         44
        .size:           2
        .value_kind:     hidden_remainder_y
      - .offset:         46
        .size:           2
        .value_kind:     hidden_remainder_z
      - .offset:         64
        .size:           8
        .value_kind:     hidden_global_offset_x
      - .offset:         72
        .size:           8
        .value_kind:     hidden_global_offset_y
      - .offset:         80
        .size:           8
        .value_kind:     hidden_global_offset_z
      - .offset:         88
        .size:           2
        .value_kind:     hidden_grid_dims
    .group_segment_fixed_size: 0
    .kernarg_segment_align: 8
    .kernarg_segment_size: 280
    .language:       OpenCL C
    .language_version:
      - 2
      - 0
    .max_flat_workgroup_size: 256
    .name:           _Z6kernelI14exclusive_scaniLj256ELj16ELj100EEvPKT0_PS1_S1_
    .private_segment_fixed_size: 0
    .sgpr_count:     17
    .sgpr_spill_count: 0
    .symbol:         _Z6kernelI14exclusive_scaniLj256ELj16ELj100EEvPKT0_PS1_S1_.kd
    .uniform_work_group_size: 1
    .uses_dynamic_stack: false
    .vgpr_count:     6
    .vgpr_spill_count: 0
    .wavefront_size: 64
  - .args:
      - .address_space:  global
        .offset:         0
        .size:           8
        .value_kind:     global_buffer
      - .address_space:  global
        .offset:         8
        .size:           8
        .value_kind:     global_buffer
      - .offset:         16
        .size:           4
        .value_kind:     by_value
      - .offset:         24
        .size:           4
        .value_kind:     hidden_block_count_x
      - .offset:         28
        .size:           4
        .value_kind:     hidden_block_count_y
      - .offset:         32
        .size:           4
        .value_kind:     hidden_block_count_z
      - .offset:         36
        .size:           2
        .value_kind:     hidden_group_size_x
      - .offset:         38
        .size:           2
        .value_kind:     hidden_group_size_y
      - .offset:         40
        .size:           2
        .value_kind:     hidden_group_size_z
      - .offset:         42
        .size:           2
        .value_kind:     hidden_remainder_x
      - .offset:         44
        .size:           2
        .value_kind:     hidden_remainder_y
      - .offset:         46
        .size:           2
        .value_kind:     hidden_remainder_z
      - .offset:         64
        .size:           8
        .value_kind:     hidden_global_offset_x
      - .offset:         72
        .size:           8
        .value_kind:     hidden_global_offset_y
      - .offset:         80
        .size:           8
        .value_kind:     hidden_global_offset_z
      - .offset:         88
        .size:           2
        .value_kind:     hidden_grid_dims
    .group_segment_fixed_size: 124
    .kernarg_segment_align: 8
    .kernarg_segment_size: 280
    .language:       OpenCL C
    .language_version:
      - 2
      - 0
    .max_flat_workgroup_size: 62
    .name:           _Z6kernelI14exclusive_scaniLj62ELj31ELj100EEvPKT0_PS1_S1_
    .private_segment_fixed_size: 0
    .sgpr_count:     18
    .sgpr_spill_count: 0
    .symbol:         _Z6kernelI14exclusive_scaniLj62ELj31ELj100EEvPKT0_PS1_S1_.kd
    .uniform_work_group_size: 1
    .uses_dynamic_stack: false
    .vgpr_count:     10
    .vgpr_spill_count: 0
    .wavefront_size: 64
  - .args:
      - .address_space:  global
        .offset:         0
        .size:           8
        .value_kind:     global_buffer
      - .address_space:  global
        .offset:         8
        .size:           8
        .value_kind:     global_buffer
      - .offset:         16
        .size:           4
        .value_kind:     by_value
      - .offset:         24
        .size:           4
        .value_kind:     hidden_block_count_x
      - .offset:         28
        .size:           4
        .value_kind:     hidden_block_count_y
      - .offset:         32
        .size:           4
        .value_kind:     hidden_block_count_z
      - .offset:         36
        .size:           2
        .value_kind:     hidden_group_size_x
      - .offset:         38
        .size:           2
        .value_kind:     hidden_group_size_y
      - .offset:         40
        .size:           2
        .value_kind:     hidden_group_size_z
      - .offset:         42
        .size:           2
        .value_kind:     hidden_remainder_x
      - .offset:         44
        .size:           2
        .value_kind:     hidden_remainder_y
      - .offset:         46
        .size:           2
        .value_kind:     hidden_remainder_z
      - .offset:         64
        .size:           8
        .value_kind:     hidden_global_offset_x
      - .offset:         72
        .size:           8
        .value_kind:     hidden_global_offset_y
      - .offset:         80
        .size:           8
        .value_kind:     hidden_global_offset_z
      - .offset:         88
        .size:           2
        .value_kind:     hidden_grid_dims
    .group_segment_fixed_size: 0
    .kernarg_segment_align: 8
    .kernarg_segment_size: 280
    .language:       OpenCL C
    .language_version:
      - 2
      - 0
    .max_flat_workgroup_size: 256
    .name:           _Z6kernelI14exclusive_scaniLj256ELj32ELj100EEvPKT0_PS1_S1_
    .private_segment_fixed_size: 0
    .sgpr_count:     18
    .sgpr_spill_count: 0
    .symbol:         _Z6kernelI14exclusive_scaniLj256ELj32ELj100EEvPKT0_PS1_S1_.kd
    .uniform_work_group_size: 1
    .uses_dynamic_stack: false
    .vgpr_count:     6
    .vgpr_spill_count: 0
    .wavefront_size: 64
  - .args:
      - .address_space:  global
        .offset:         0
        .size:           8
        .value_kind:     global_buffer
      - .address_space:  global
        .offset:         8
        .size:           8
        .value_kind:     global_buffer
      - .offset:         16
        .size:           4
        .value_kind:     by_value
      - .offset:         24
        .size:           4
        .value_kind:     hidden_block_count_x
      - .offset:         28
        .size:           4
        .value_kind:     hidden_block_count_y
      - .offset:         32
        .size:           4
        .value_kind:     hidden_block_count_z
      - .offset:         36
        .size:           2
        .value_kind:     hidden_group_size_x
      - .offset:         38
        .size:           2
        .value_kind:     hidden_group_size_y
      - .offset:         40
        .size:           2
        .value_kind:     hidden_group_size_z
      - .offset:         42
        .size:           2
        .value_kind:     hidden_remainder_x
      - .offset:         44
        .size:           2
        .value_kind:     hidden_remainder_y
      - .offset:         46
        .size:           2
        .value_kind:     hidden_remainder_z
      - .offset:         64
        .size:           8
        .value_kind:     hidden_global_offset_x
      - .offset:         72
        .size:           8
        .value_kind:     hidden_global_offset_y
      - .offset:         80
        .size:           8
        .value_kind:     hidden_global_offset_z
      - .offset:         88
        .size:           2
        .value_kind:     hidden_grid_dims
    .group_segment_fixed_size: 252
    .kernarg_segment_align: 8
    .kernarg_segment_size: 280
    .language:       OpenCL C
    .language_version:
      - 2
      - 0
    .max_flat_workgroup_size: 63
    .name:           _Z6kernelI14exclusive_scaniLj63ELj63ELj100EEvPKT0_PS1_S1_
    .private_segment_fixed_size: 0
    .sgpr_count:     20
    .sgpr_spill_count: 0
    .symbol:         _Z6kernelI14exclusive_scaniLj63ELj63ELj100EEvPKT0_PS1_S1_.kd
    .uniform_work_group_size: 1
    .uses_dynamic_stack: false
    .vgpr_count:     11
    .vgpr_spill_count: 0
    .wavefront_size: 64
  - .args:
      - .address_space:  global
        .offset:         0
        .size:           8
        .value_kind:     global_buffer
      - .address_space:  global
        .offset:         8
        .size:           8
        .value_kind:     global_buffer
      - .offset:         16
        .size:           4
        .value_kind:     by_value
      - .offset:         24
        .size:           4
        .value_kind:     hidden_block_count_x
      - .offset:         28
        .size:           4
        .value_kind:     hidden_block_count_y
      - .offset:         32
        .size:           4
        .value_kind:     hidden_block_count_z
      - .offset:         36
        .size:           2
        .value_kind:     hidden_group_size_x
      - .offset:         38
        .size:           2
        .value_kind:     hidden_group_size_y
      - .offset:         40
        .size:           2
        .value_kind:     hidden_group_size_z
      - .offset:         42
        .size:           2
        .value_kind:     hidden_remainder_x
      - .offset:         44
        .size:           2
        .value_kind:     hidden_remainder_y
      - .offset:         46
        .size:           2
        .value_kind:     hidden_remainder_z
      - .offset:         64
        .size:           8
        .value_kind:     hidden_global_offset_x
      - .offset:         72
        .size:           8
        .value_kind:     hidden_global_offset_y
      - .offset:         80
        .size:           8
        .value_kind:     hidden_global_offset_z
      - .offset:         88
        .size:           2
        .value_kind:     hidden_grid_dims
    .group_segment_fixed_size: 0
    .kernarg_segment_align: 8
    .kernarg_segment_size: 280
    .language:       OpenCL C
    .language_version:
      - 2
      - 0
    .max_flat_workgroup_size: 64
    .name:           _Z6kernelI14exclusive_scaniLj64ELj64ELj100EEvPKT0_PS1_S1_
    .private_segment_fixed_size: 0
    .sgpr_count:     21
    .sgpr_spill_count: 0
    .symbol:         _Z6kernelI14exclusive_scaniLj64ELj64ELj100EEvPKT0_PS1_S1_.kd
    .uniform_work_group_size: 1
    .uses_dynamic_stack: false
    .vgpr_count:     6
    .vgpr_spill_count: 0
    .wavefront_size: 64
  - .args:
      - .address_space:  global
        .offset:         0
        .size:           8
        .value_kind:     global_buffer
      - .address_space:  global
        .offset:         8
        .size:           8
        .value_kind:     global_buffer
      - .offset:         16
        .size:           4
        .value_kind:     by_value
      - .offset:         24
        .size:           4
        .value_kind:     hidden_block_count_x
      - .offset:         28
        .size:           4
        .value_kind:     hidden_block_count_y
      - .offset:         32
        .size:           4
        .value_kind:     hidden_block_count_z
      - .offset:         36
        .size:           2
        .value_kind:     hidden_group_size_x
      - .offset:         38
        .size:           2
        .value_kind:     hidden_group_size_y
      - .offset:         40
        .size:           2
        .value_kind:     hidden_group_size_z
      - .offset:         42
        .size:           2
        .value_kind:     hidden_remainder_x
      - .offset:         44
        .size:           2
        .value_kind:     hidden_remainder_y
      - .offset:         46
        .size:           2
        .value_kind:     hidden_remainder_z
      - .offset:         64
        .size:           8
        .value_kind:     hidden_global_offset_x
      - .offset:         72
        .size:           8
        .value_kind:     hidden_global_offset_y
      - .offset:         80
        .size:           8
        .value_kind:     hidden_global_offset_z
      - .offset:         88
        .size:           2
        .value_kind:     hidden_grid_dims
    .group_segment_fixed_size: 0
    .kernarg_segment_align: 8
    .kernarg_segment_size: 280
    .language:       OpenCL C
    .language_version:
      - 2
      - 0
    .max_flat_workgroup_size: 128
    .name:           _Z6kernelI14exclusive_scaniLj128ELj64ELj100EEvPKT0_PS1_S1_
    .private_segment_fixed_size: 0
    .sgpr_count:     21
    .sgpr_spill_count: 0
    .symbol:         _Z6kernelI14exclusive_scaniLj128ELj64ELj100EEvPKT0_PS1_S1_.kd
    .uniform_work_group_size: 1
    .uses_dynamic_stack: false
    .vgpr_count:     6
    .vgpr_spill_count: 0
    .wavefront_size: 64
  - .args:
      - .address_space:  global
        .offset:         0
        .size:           8
        .value_kind:     global_buffer
      - .address_space:  global
        .offset:         8
        .size:           8
        .value_kind:     global_buffer
      - .offset:         16
        .size:           4
        .value_kind:     by_value
      - .offset:         24
        .size:           4
        .value_kind:     hidden_block_count_x
      - .offset:         28
        .size:           4
        .value_kind:     hidden_block_count_y
      - .offset:         32
        .size:           4
        .value_kind:     hidden_block_count_z
      - .offset:         36
        .size:           2
        .value_kind:     hidden_group_size_x
      - .offset:         38
        .size:           2
        .value_kind:     hidden_group_size_y
      - .offset:         40
        .size:           2
        .value_kind:     hidden_group_size_z
      - .offset:         42
        .size:           2
        .value_kind:     hidden_remainder_x
      - .offset:         44
        .size:           2
        .value_kind:     hidden_remainder_y
      - .offset:         46
        .size:           2
        .value_kind:     hidden_remainder_z
      - .offset:         64
        .size:           8
        .value_kind:     hidden_global_offset_x
      - .offset:         72
        .size:           8
        .value_kind:     hidden_global_offset_y
      - .offset:         80
        .size:           8
        .value_kind:     hidden_global_offset_z
      - .offset:         88
        .size:           2
        .value_kind:     hidden_grid_dims
    .group_segment_fixed_size: 0
    .kernarg_segment_align: 8
    .kernarg_segment_size: 280
    .language:       OpenCL C
    .language_version:
      - 2
      - 0
    .max_flat_workgroup_size: 256
    .name:           _Z6kernelI14exclusive_scaniLj256ELj64ELj100EEvPKT0_PS1_S1_
    .private_segment_fixed_size: 0
    .sgpr_count:     21
    .sgpr_spill_count: 0
    .symbol:         _Z6kernelI14exclusive_scaniLj256ELj64ELj100EEvPKT0_PS1_S1_.kd
    .uniform_work_group_size: 1
    .uses_dynamic_stack: false
    .vgpr_count:     6
    .vgpr_spill_count: 0
    .wavefront_size: 64
  - .args:
      - .address_space:  global
        .offset:         0
        .size:           8
        .value_kind:     global_buffer
      - .address_space:  global
        .offset:         8
        .size:           8
        .value_kind:     global_buffer
      - .offset:         16
        .size:           4
        .value_kind:     by_value
      - .offset:         24
        .size:           4
        .value_kind:     hidden_block_count_x
      - .offset:         28
        .size:           4
        .value_kind:     hidden_block_count_y
      - .offset:         32
        .size:           4
        .value_kind:     hidden_block_count_z
      - .offset:         36
        .size:           2
        .value_kind:     hidden_group_size_x
      - .offset:         38
        .size:           2
        .value_kind:     hidden_group_size_y
      - .offset:         40
        .size:           2
        .value_kind:     hidden_group_size_z
      - .offset:         42
        .size:           2
        .value_kind:     hidden_remainder_x
      - .offset:         44
        .size:           2
        .value_kind:     hidden_remainder_y
      - .offset:         46
        .size:           2
        .value_kind:     hidden_remainder_z
      - .offset:         64
        .size:           8
        .value_kind:     hidden_global_offset_x
      - .offset:         72
        .size:           8
        .value_kind:     hidden_global_offset_y
      - .offset:         80
        .size:           8
        .value_kind:     hidden_global_offset_z
      - .offset:         88
        .size:           2
        .value_kind:     hidden_grid_dims
    .group_segment_fixed_size: 60
    .kernarg_segment_align: 8
    .kernarg_segment_size: 280
    .language:       OpenCL C
    .language_version:
      - 2
      - 0
    .max_flat_workgroup_size: 60
    .name:           _Z6kernelI14exclusive_scanfLj60ELj15ELj100EEvPKT0_PS1_S1_
    .private_segment_fixed_size: 0
    .sgpr_count:     17
    .sgpr_spill_count: 0
    .symbol:         _Z6kernelI14exclusive_scanfLj60ELj15ELj100EEvPKT0_PS1_S1_.kd
    .uniform_work_group_size: 1
    .uses_dynamic_stack: false
    .vgpr_count:     9
    .vgpr_spill_count: 0
    .wavefront_size: 64
  - .args:
      - .address_space:  global
        .offset:         0
        .size:           8
        .value_kind:     global_buffer
      - .address_space:  global
        .offset:         8
        .size:           8
        .value_kind:     global_buffer
      - .offset:         16
        .size:           4
        .value_kind:     by_value
      - .offset:         24
        .size:           4
        .value_kind:     hidden_block_count_x
      - .offset:         28
        .size:           4
        .value_kind:     hidden_block_count_y
      - .offset:         32
        .size:           4
        .value_kind:     hidden_block_count_z
      - .offset:         36
        .size:           2
        .value_kind:     hidden_group_size_x
      - .offset:         38
        .size:           2
        .value_kind:     hidden_group_size_y
      - .offset:         40
        .size:           2
        .value_kind:     hidden_group_size_z
      - .offset:         42
        .size:           2
        .value_kind:     hidden_remainder_x
      - .offset:         44
        .size:           2
        .value_kind:     hidden_remainder_y
      - .offset:         46
        .size:           2
        .value_kind:     hidden_remainder_z
      - .offset:         64
        .size:           8
        .value_kind:     hidden_global_offset_x
      - .offset:         72
        .size:           8
        .value_kind:     hidden_global_offset_y
      - .offset:         80
        .size:           8
        .value_kind:     hidden_global_offset_z
      - .offset:         88
        .size:           2
        .value_kind:     hidden_grid_dims
    .group_segment_fixed_size: 0
    .kernarg_segment_align: 8
    .kernarg_segment_size: 280
    .language:       OpenCL C
    .language_version:
      - 2
      - 0
    .max_flat_workgroup_size: 256
    .name:           _Z6kernelI14exclusive_scanfLj256ELj16ELj100EEvPKT0_PS1_S1_
    .private_segment_fixed_size: 0
    .sgpr_count:     17
    .sgpr_spill_count: 0
    .symbol:         _Z6kernelI14exclusive_scanfLj256ELj16ELj100EEvPKT0_PS1_S1_.kd
    .uniform_work_group_size: 1
    .uses_dynamic_stack: false
    .vgpr_count:     6
    .vgpr_spill_count: 0
    .wavefront_size: 64
  - .args:
      - .address_space:  global
        .offset:         0
        .size:           8
        .value_kind:     global_buffer
      - .address_space:  global
        .offset:         8
        .size:           8
        .value_kind:     global_buffer
      - .offset:         16
        .size:           4
        .value_kind:     by_value
      - .offset:         24
        .size:           4
        .value_kind:     hidden_block_count_x
      - .offset:         28
        .size:           4
        .value_kind:     hidden_block_count_y
      - .offset:         32
        .size:           4
        .value_kind:     hidden_block_count_z
      - .offset:         36
        .size:           2
        .value_kind:     hidden_group_size_x
      - .offset:         38
        .size:           2
        .value_kind:     hidden_group_size_y
      - .offset:         40
        .size:           2
        .value_kind:     hidden_group_size_z
      - .offset:         42
        .size:           2
        .value_kind:     hidden_remainder_x
      - .offset:         44
        .size:           2
        .value_kind:     hidden_remainder_y
      - .offset:         46
        .size:           2
        .value_kind:     hidden_remainder_z
      - .offset:         64
        .size:           8
        .value_kind:     hidden_global_offset_x
      - .offset:         72
        .size:           8
        .value_kind:     hidden_global_offset_y
      - .offset:         80
        .size:           8
        .value_kind:     hidden_global_offset_z
      - .offset:         88
        .size:           2
        .value_kind:     hidden_grid_dims
    .group_segment_fixed_size: 124
    .kernarg_segment_align: 8
    .kernarg_segment_size: 280
    .language:       OpenCL C
    .language_version:
      - 2
      - 0
    .max_flat_workgroup_size: 62
    .name:           _Z6kernelI14exclusive_scanfLj62ELj31ELj100EEvPKT0_PS1_S1_
    .private_segment_fixed_size: 0
    .sgpr_count:     18
    .sgpr_spill_count: 0
    .symbol:         _Z6kernelI14exclusive_scanfLj62ELj31ELj100EEvPKT0_PS1_S1_.kd
    .uniform_work_group_size: 1
    .uses_dynamic_stack: false
    .vgpr_count:     10
    .vgpr_spill_count: 0
    .wavefront_size: 64
  - .args:
      - .address_space:  global
        .offset:         0
        .size:           8
        .value_kind:     global_buffer
      - .address_space:  global
        .offset:         8
        .size:           8
        .value_kind:     global_buffer
      - .offset:         16
        .size:           4
        .value_kind:     by_value
      - .offset:         24
        .size:           4
        .value_kind:     hidden_block_count_x
      - .offset:         28
        .size:           4
        .value_kind:     hidden_block_count_y
      - .offset:         32
        .size:           4
        .value_kind:     hidden_block_count_z
      - .offset:         36
        .size:           2
        .value_kind:     hidden_group_size_x
      - .offset:         38
        .size:           2
        .value_kind:     hidden_group_size_y
      - .offset:         40
        .size:           2
        .value_kind:     hidden_group_size_z
      - .offset:         42
        .size:           2
        .value_kind:     hidden_remainder_x
      - .offset:         44
        .size:           2
        .value_kind:     hidden_remainder_y
      - .offset:         46
        .size:           2
        .value_kind:     hidden_remainder_z
      - .offset:         64
        .size:           8
        .value_kind:     hidden_global_offset_x
      - .offset:         72
        .size:           8
        .value_kind:     hidden_global_offset_y
      - .offset:         80
        .size:           8
        .value_kind:     hidden_global_offset_z
      - .offset:         88
        .size:           2
        .value_kind:     hidden_grid_dims
    .group_segment_fixed_size: 0
    .kernarg_segment_align: 8
    .kernarg_segment_size: 280
    .language:       OpenCL C
    .language_version:
      - 2
      - 0
    .max_flat_workgroup_size: 256
    .name:           _Z6kernelI14exclusive_scanfLj256ELj32ELj100EEvPKT0_PS1_S1_
    .private_segment_fixed_size: 0
    .sgpr_count:     18
    .sgpr_spill_count: 0
    .symbol:         _Z6kernelI14exclusive_scanfLj256ELj32ELj100EEvPKT0_PS1_S1_.kd
    .uniform_work_group_size: 1
    .uses_dynamic_stack: false
    .vgpr_count:     6
    .vgpr_spill_count: 0
    .wavefront_size: 64
  - .args:
      - .address_space:  global
        .offset:         0
        .size:           8
        .value_kind:     global_buffer
      - .address_space:  global
        .offset:         8
        .size:           8
        .value_kind:     global_buffer
      - .offset:         16
        .size:           4
        .value_kind:     by_value
      - .offset:         24
        .size:           4
        .value_kind:     hidden_block_count_x
      - .offset:         28
        .size:           4
        .value_kind:     hidden_block_count_y
      - .offset:         32
        .size:           4
        .value_kind:     hidden_block_count_z
      - .offset:         36
        .size:           2
        .value_kind:     hidden_group_size_x
      - .offset:         38
        .size:           2
        .value_kind:     hidden_group_size_y
      - .offset:         40
        .size:           2
        .value_kind:     hidden_group_size_z
      - .offset:         42
        .size:           2
        .value_kind:     hidden_remainder_x
      - .offset:         44
        .size:           2
        .value_kind:     hidden_remainder_y
      - .offset:         46
        .size:           2
        .value_kind:     hidden_remainder_z
      - .offset:         64
        .size:           8
        .value_kind:     hidden_global_offset_x
      - .offset:         72
        .size:           8
        .value_kind:     hidden_global_offset_y
      - .offset:         80
        .size:           8
        .value_kind:     hidden_global_offset_z
      - .offset:         88
        .size:           2
        .value_kind:     hidden_grid_dims
    .group_segment_fixed_size: 252
    .kernarg_segment_align: 8
    .kernarg_segment_size: 280
    .language:       OpenCL C
    .language_version:
      - 2
      - 0
    .max_flat_workgroup_size: 63
    .name:           _Z6kernelI14exclusive_scanfLj63ELj63ELj100EEvPKT0_PS1_S1_
    .private_segment_fixed_size: 0
    .sgpr_count:     20
    .sgpr_spill_count: 0
    .symbol:         _Z6kernelI14exclusive_scanfLj63ELj63ELj100EEvPKT0_PS1_S1_.kd
    .uniform_work_group_size: 1
    .uses_dynamic_stack: false
    .vgpr_count:     11
    .vgpr_spill_count: 0
    .wavefront_size: 64
  - .args:
      - .address_space:  global
        .offset:         0
        .size:           8
        .value_kind:     global_buffer
      - .address_space:  global
        .offset:         8
        .size:           8
        .value_kind:     global_buffer
      - .offset:         16
        .size:           4
        .value_kind:     by_value
      - .offset:         24
        .size:           4
        .value_kind:     hidden_block_count_x
      - .offset:         28
        .size:           4
        .value_kind:     hidden_block_count_y
      - .offset:         32
        .size:           4
        .value_kind:     hidden_block_count_z
      - .offset:         36
        .size:           2
        .value_kind:     hidden_group_size_x
      - .offset:         38
        .size:           2
        .value_kind:     hidden_group_size_y
      - .offset:         40
        .size:           2
        .value_kind:     hidden_group_size_z
      - .offset:         42
        .size:           2
        .value_kind:     hidden_remainder_x
      - .offset:         44
        .size:           2
        .value_kind:     hidden_remainder_y
      - .offset:         46
        .size:           2
        .value_kind:     hidden_remainder_z
      - .offset:         64
        .size:           8
        .value_kind:     hidden_global_offset_x
      - .offset:         72
        .size:           8
        .value_kind:     hidden_global_offset_y
      - .offset:         80
        .size:           8
        .value_kind:     hidden_global_offset_z
      - .offset:         88
        .size:           2
        .value_kind:     hidden_grid_dims
    .group_segment_fixed_size: 0
    .kernarg_segment_align: 8
    .kernarg_segment_size: 280
    .language:       OpenCL C
    .language_version:
      - 2
      - 0
    .max_flat_workgroup_size: 64
    .name:           _Z6kernelI14exclusive_scanfLj64ELj64ELj100EEvPKT0_PS1_S1_
    .private_segment_fixed_size: 0
    .sgpr_count:     21
    .sgpr_spill_count: 0
    .symbol:         _Z6kernelI14exclusive_scanfLj64ELj64ELj100EEvPKT0_PS1_S1_.kd
    .uniform_work_group_size: 1
    .uses_dynamic_stack: false
    .vgpr_count:     6
    .vgpr_spill_count: 0
    .wavefront_size: 64
  - .args:
      - .address_space:  global
        .offset:         0
        .size:           8
        .value_kind:     global_buffer
      - .address_space:  global
        .offset:         8
        .size:           8
        .value_kind:     global_buffer
      - .offset:         16
        .size:           4
        .value_kind:     by_value
      - .offset:         24
        .size:           4
        .value_kind:     hidden_block_count_x
      - .offset:         28
        .size:           4
        .value_kind:     hidden_block_count_y
      - .offset:         32
        .size:           4
        .value_kind:     hidden_block_count_z
      - .offset:         36
        .size:           2
        .value_kind:     hidden_group_size_x
      - .offset:         38
        .size:           2
        .value_kind:     hidden_group_size_y
      - .offset:         40
        .size:           2
        .value_kind:     hidden_group_size_z
      - .offset:         42
        .size:           2
        .value_kind:     hidden_remainder_x
      - .offset:         44
        .size:           2
        .value_kind:     hidden_remainder_y
      - .offset:         46
        .size:           2
        .value_kind:     hidden_remainder_z
      - .offset:         64
        .size:           8
        .value_kind:     hidden_global_offset_x
      - .offset:         72
        .size:           8
        .value_kind:     hidden_global_offset_y
      - .offset:         80
        .size:           8
        .value_kind:     hidden_global_offset_z
      - .offset:         88
        .size:           2
        .value_kind:     hidden_grid_dims
    .group_segment_fixed_size: 0
    .kernarg_segment_align: 8
    .kernarg_segment_size: 280
    .language:       OpenCL C
    .language_version:
      - 2
      - 0
    .max_flat_workgroup_size: 128
    .name:           _Z6kernelI14exclusive_scanfLj128ELj64ELj100EEvPKT0_PS1_S1_
    .private_segment_fixed_size: 0
    .sgpr_count:     21
    .sgpr_spill_count: 0
    .symbol:         _Z6kernelI14exclusive_scanfLj128ELj64ELj100EEvPKT0_PS1_S1_.kd
    .uniform_work_group_size: 1
    .uses_dynamic_stack: false
    .vgpr_count:     6
    .vgpr_spill_count: 0
    .wavefront_size: 64
  - .args:
      - .address_space:  global
        .offset:         0
        .size:           8
        .value_kind:     global_buffer
      - .address_space:  global
        .offset:         8
        .size:           8
        .value_kind:     global_buffer
      - .offset:         16
        .size:           4
        .value_kind:     by_value
      - .offset:         24
        .size:           4
        .value_kind:     hidden_block_count_x
      - .offset:         28
        .size:           4
        .value_kind:     hidden_block_count_y
      - .offset:         32
        .size:           4
        .value_kind:     hidden_block_count_z
      - .offset:         36
        .size:           2
        .value_kind:     hidden_group_size_x
      - .offset:         38
        .size:           2
        .value_kind:     hidden_group_size_y
      - .offset:         40
        .size:           2
        .value_kind:     hidden_group_size_z
      - .offset:         42
        .size:           2
        .value_kind:     hidden_remainder_x
      - .offset:         44
        .size:           2
        .value_kind:     hidden_remainder_y
      - .offset:         46
        .size:           2
        .value_kind:     hidden_remainder_z
      - .offset:         64
        .size:           8
        .value_kind:     hidden_global_offset_x
      - .offset:         72
        .size:           8
        .value_kind:     hidden_global_offset_y
      - .offset:         80
        .size:           8
        .value_kind:     hidden_global_offset_z
      - .offset:         88
        .size:           2
        .value_kind:     hidden_grid_dims
    .group_segment_fixed_size: 0
    .kernarg_segment_align: 8
    .kernarg_segment_size: 280
    .language:       OpenCL C
    .language_version:
      - 2
      - 0
    .max_flat_workgroup_size: 256
    .name:           _Z6kernelI14exclusive_scanfLj256ELj64ELj100EEvPKT0_PS1_S1_
    .private_segment_fixed_size: 0
    .sgpr_count:     21
    .sgpr_spill_count: 0
    .symbol:         _Z6kernelI14exclusive_scanfLj256ELj64ELj100EEvPKT0_PS1_S1_.kd
    .uniform_work_group_size: 1
    .uses_dynamic_stack: false
    .vgpr_count:     6
    .vgpr_spill_count: 0
    .wavefront_size: 64
  - .args:
      - .address_space:  global
        .offset:         0
        .size:           8
        .value_kind:     global_buffer
      - .address_space:  global
        .offset:         8
        .size:           8
        .value_kind:     global_buffer
      - .offset:         16
        .size:           8
        .value_kind:     by_value
      - .offset:         24
        .size:           4
        .value_kind:     hidden_block_count_x
      - .offset:         28
        .size:           4
        .value_kind:     hidden_block_count_y
      - .offset:         32
        .size:           4
        .value_kind:     hidden_block_count_z
      - .offset:         36
        .size:           2
        .value_kind:     hidden_group_size_x
      - .offset:         38
        .size:           2
        .value_kind:     hidden_group_size_y
      - .offset:         40
        .size:           2
        .value_kind:     hidden_group_size_z
      - .offset:         42
        .size:           2
        .value_kind:     hidden_remainder_x
      - .offset:         44
        .size:           2
        .value_kind:     hidden_remainder_y
      - .offset:         46
        .size:           2
        .value_kind:     hidden_remainder_z
      - .offset:         64
        .size:           8
        .value_kind:     hidden_global_offset_x
      - .offset:         72
        .size:           8
        .value_kind:     hidden_global_offset_y
      - .offset:         80
        .size:           8
        .value_kind:     hidden_global_offset_z
      - .offset:         88
        .size:           2
        .value_kind:     hidden_grid_dims
    .group_segment_fixed_size: 120
    .kernarg_segment_align: 8
    .kernarg_segment_size: 280
    .language:       OpenCL C
    .language_version:
      - 2
      - 0
    .max_flat_workgroup_size: 60
    .name:           _Z6kernelI14exclusive_scandLj60ELj15ELj100EEvPKT0_PS1_S1_
    .private_segment_fixed_size: 0
    .sgpr_count:     18
    .sgpr_spill_count: 0
    .symbol:         _Z6kernelI14exclusive_scandLj60ELj15ELj100EEvPKT0_PS1_S1_.kd
    .uniform_work_group_size: 1
    .uses_dynamic_stack: false
    .vgpr_count:     11
    .vgpr_spill_count: 0
    .wavefront_size: 64
  - .args:
      - .address_space:  global
        .offset:         0
        .size:           8
        .value_kind:     global_buffer
      - .address_space:  global
        .offset:         8
        .size:           8
        .value_kind:     global_buffer
      - .offset:         16
        .size:           8
        .value_kind:     by_value
      - .offset:         24
        .size:           4
        .value_kind:     hidden_block_count_x
      - .offset:         28
        .size:           4
        .value_kind:     hidden_block_count_y
      - .offset:         32
        .size:           4
        .value_kind:     hidden_block_count_z
      - .offset:         36
        .size:           2
        .value_kind:     hidden_group_size_x
      - .offset:         38
        .size:           2
        .value_kind:     hidden_group_size_y
      - .offset:         40
        .size:           2
        .value_kind:     hidden_group_size_z
      - .offset:         42
        .size:           2
        .value_kind:     hidden_remainder_x
      - .offset:         44
        .size:           2
        .value_kind:     hidden_remainder_y
      - .offset:         46
        .size:           2
        .value_kind:     hidden_remainder_z
      - .offset:         64
        .size:           8
        .value_kind:     hidden_global_offset_x
      - .offset:         72
        .size:           8
        .value_kind:     hidden_global_offset_y
      - .offset:         80
        .size:           8
        .value_kind:     hidden_global_offset_z
      - .offset:         88
        .size:           2
        .value_kind:     hidden_grid_dims
    .group_segment_fixed_size: 0
    .kernarg_segment_align: 8
    .kernarg_segment_size: 280
    .language:       OpenCL C
    .language_version:
      - 2
      - 0
    .max_flat_workgroup_size: 256
    .name:           _Z6kernelI14exclusive_scandLj256ELj16ELj100EEvPKT0_PS1_S1_
    .private_segment_fixed_size: 0
    .sgpr_count:     19
    .sgpr_spill_count: 0
    .symbol:         _Z6kernelI14exclusive_scandLj256ELj16ELj100EEvPKT0_PS1_S1_.kd
    .uniform_work_group_size: 1
    .uses_dynamic_stack: false
    .vgpr_count:     7
    .vgpr_spill_count: 0
    .wavefront_size: 64
  - .args:
      - .address_space:  global
        .offset:         0
        .size:           8
        .value_kind:     global_buffer
      - .address_space:  global
        .offset:         8
        .size:           8
        .value_kind:     global_buffer
      - .offset:         16
        .size:           8
        .value_kind:     by_value
      - .offset:         24
        .size:           4
        .value_kind:     hidden_block_count_x
      - .offset:         28
        .size:           4
        .value_kind:     hidden_block_count_y
      - .offset:         32
        .size:           4
        .value_kind:     hidden_block_count_z
      - .offset:         36
        .size:           2
        .value_kind:     hidden_group_size_x
      - .offset:         38
        .size:           2
        .value_kind:     hidden_group_size_y
      - .offset:         40
        .size:           2
        .value_kind:     hidden_group_size_z
      - .offset:         42
        .size:           2
        .value_kind:     hidden_remainder_x
      - .offset:         44
        .size:           2
        .value_kind:     hidden_remainder_y
      - .offset:         46
        .size:           2
        .value_kind:     hidden_remainder_z
      - .offset:         64
        .size:           8
        .value_kind:     hidden_global_offset_x
      - .offset:         72
        .size:           8
        .value_kind:     hidden_global_offset_y
      - .offset:         80
        .size:           8
        .value_kind:     hidden_global_offset_z
      - .offset:         88
        .size:           2
        .value_kind:     hidden_grid_dims
    .group_segment_fixed_size: 248
    .kernarg_segment_align: 8
    .kernarg_segment_size: 280
    .language:       OpenCL C
    .language_version:
      - 2
      - 0
    .max_flat_workgroup_size: 62
    .name:           _Z6kernelI14exclusive_scandLj62ELj31ELj100EEvPKT0_PS1_S1_
    .private_segment_fixed_size: 0
    .sgpr_count:     19
    .sgpr_spill_count: 0
    .symbol:         _Z6kernelI14exclusive_scandLj62ELj31ELj100EEvPKT0_PS1_S1_.kd
    .uniform_work_group_size: 1
    .uses_dynamic_stack: false
    .vgpr_count:     12
    .vgpr_spill_count: 0
    .wavefront_size: 64
  - .args:
      - .address_space:  global
        .offset:         0
        .size:           8
        .value_kind:     global_buffer
      - .address_space:  global
        .offset:         8
        .size:           8
        .value_kind:     global_buffer
      - .offset:         16
        .size:           8
        .value_kind:     by_value
      - .offset:         24
        .size:           4
        .value_kind:     hidden_block_count_x
      - .offset:         28
        .size:           4
        .value_kind:     hidden_block_count_y
      - .offset:         32
        .size:           4
        .value_kind:     hidden_block_count_z
      - .offset:         36
        .size:           2
        .value_kind:     hidden_group_size_x
      - .offset:         38
        .size:           2
        .value_kind:     hidden_group_size_y
      - .offset:         40
        .size:           2
        .value_kind:     hidden_group_size_z
      - .offset:         42
        .size:           2
        .value_kind:     hidden_remainder_x
      - .offset:         44
        .size:           2
        .value_kind:     hidden_remainder_y
      - .offset:         46
        .size:           2
        .value_kind:     hidden_remainder_z
      - .offset:         64
        .size:           8
        .value_kind:     hidden_global_offset_x
      - .offset:         72
        .size:           8
        .value_kind:     hidden_global_offset_y
      - .offset:         80
        .size:           8
        .value_kind:     hidden_global_offset_z
      - .offset:         88
        .size:           2
        .value_kind:     hidden_grid_dims
    .group_segment_fixed_size: 0
    .kernarg_segment_align: 8
    .kernarg_segment_size: 280
    .language:       OpenCL C
    .language_version:
      - 2
      - 0
    .max_flat_workgroup_size: 256
    .name:           _Z6kernelI14exclusive_scandLj256ELj32ELj100EEvPKT0_PS1_S1_
    .private_segment_fixed_size: 0
    .sgpr_count:     21
    .sgpr_spill_count: 0
    .symbol:         _Z6kernelI14exclusive_scandLj256ELj32ELj100EEvPKT0_PS1_S1_.kd
    .uniform_work_group_size: 1
    .uses_dynamic_stack: false
    .vgpr_count:     7
    .vgpr_spill_count: 0
    .wavefront_size: 64
  - .args:
      - .address_space:  global
        .offset:         0
        .size:           8
        .value_kind:     global_buffer
      - .address_space:  global
        .offset:         8
        .size:           8
        .value_kind:     global_buffer
      - .offset:         16
        .size:           8
        .value_kind:     by_value
      - .offset:         24
        .size:           4
        .value_kind:     hidden_block_count_x
      - .offset:         28
        .size:           4
        .value_kind:     hidden_block_count_y
      - .offset:         32
        .size:           4
        .value_kind:     hidden_block_count_z
      - .offset:         36
        .size:           2
        .value_kind:     hidden_group_size_x
      - .offset:         38
        .size:           2
        .value_kind:     hidden_group_size_y
      - .offset:         40
        .size:           2
        .value_kind:     hidden_group_size_z
      - .offset:         42
        .size:           2
        .value_kind:     hidden_remainder_x
      - .offset:         44
        .size:           2
        .value_kind:     hidden_remainder_y
      - .offset:         46
        .size:           2
        .value_kind:     hidden_remainder_z
      - .offset:         64
        .size:           8
        .value_kind:     hidden_global_offset_x
      - .offset:         72
        .size:           8
        .value_kind:     hidden_global_offset_y
      - .offset:         80
        .size:           8
        .value_kind:     hidden_global_offset_z
      - .offset:         88
        .size:           2
        .value_kind:     hidden_grid_dims
    .group_segment_fixed_size: 504
    .kernarg_segment_align: 8
    .kernarg_segment_size: 280
    .language:       OpenCL C
    .language_version:
      - 2
      - 0
    .max_flat_workgroup_size: 63
    .name:           _Z6kernelI14exclusive_scandLj63ELj63ELj100EEvPKT0_PS1_S1_
    .private_segment_fixed_size: 0
    .sgpr_count:     21
    .sgpr_spill_count: 0
    .symbol:         _Z6kernelI14exclusive_scandLj63ELj63ELj100EEvPKT0_PS1_S1_.kd
    .uniform_work_group_size: 1
    .uses_dynamic_stack: false
    .vgpr_count:     13
    .vgpr_spill_count: 0
    .wavefront_size: 64
  - .args:
      - .address_space:  global
        .offset:         0
        .size:           8
        .value_kind:     global_buffer
      - .address_space:  global
        .offset:         8
        .size:           8
        .value_kind:     global_buffer
      - .offset:         16
        .size:           8
        .value_kind:     by_value
      - .offset:         24
        .size:           4
        .value_kind:     hidden_block_count_x
      - .offset:         28
        .size:           4
        .value_kind:     hidden_block_count_y
      - .offset:         32
        .size:           4
        .value_kind:     hidden_block_count_z
      - .offset:         36
        .size:           2
        .value_kind:     hidden_group_size_x
      - .offset:         38
        .size:           2
        .value_kind:     hidden_group_size_y
      - .offset:         40
        .size:           2
        .value_kind:     hidden_group_size_z
      - .offset:         42
        .size:           2
        .value_kind:     hidden_remainder_x
      - .offset:         44
        .size:           2
        .value_kind:     hidden_remainder_y
      - .offset:         46
        .size:           2
        .value_kind:     hidden_remainder_z
      - .offset:         64
        .size:           8
        .value_kind:     hidden_global_offset_x
      - .offset:         72
        .size:           8
        .value_kind:     hidden_global_offset_y
      - .offset:         80
        .size:           8
        .value_kind:     hidden_global_offset_z
      - .offset:         88
        .size:           2
        .value_kind:     hidden_grid_dims
    .group_segment_fixed_size: 0
    .kernarg_segment_align: 8
    .kernarg_segment_size: 280
    .language:       OpenCL C
    .language_version:
      - 2
      - 0
    .max_flat_workgroup_size: 64
    .name:           _Z6kernelI14exclusive_scandLj64ELj64ELj100EEvPKT0_PS1_S1_
    .private_segment_fixed_size: 0
    .sgpr_count:     23
    .sgpr_spill_count: 0
    .symbol:         _Z6kernelI14exclusive_scandLj64ELj64ELj100EEvPKT0_PS1_S1_.kd
    .uniform_work_group_size: 1
    .uses_dynamic_stack: false
    .vgpr_count:     7
    .vgpr_spill_count: 0
    .wavefront_size: 64
  - .args:
      - .address_space:  global
        .offset:         0
        .size:           8
        .value_kind:     global_buffer
      - .address_space:  global
        .offset:         8
        .size:           8
        .value_kind:     global_buffer
      - .offset:         16
        .size:           8
        .value_kind:     by_value
      - .offset:         24
        .size:           4
        .value_kind:     hidden_block_count_x
      - .offset:         28
        .size:           4
        .value_kind:     hidden_block_count_y
      - .offset:         32
        .size:           4
        .value_kind:     hidden_block_count_z
      - .offset:         36
        .size:           2
        .value_kind:     hidden_group_size_x
      - .offset:         38
        .size:           2
        .value_kind:     hidden_group_size_y
      - .offset:         40
        .size:           2
        .value_kind:     hidden_group_size_z
      - .offset:         42
        .size:           2
        .value_kind:     hidden_remainder_x
      - .offset:         44
        .size:           2
        .value_kind:     hidden_remainder_y
      - .offset:         46
        .size:           2
        .value_kind:     hidden_remainder_z
      - .offset:         64
        .size:           8
        .value_kind:     hidden_global_offset_x
      - .offset:         72
        .size:           8
        .value_kind:     hidden_global_offset_y
      - .offset:         80
        .size:           8
        .value_kind:     hidden_global_offset_z
      - .offset:         88
        .size:           2
        .value_kind:     hidden_grid_dims
    .group_segment_fixed_size: 0
    .kernarg_segment_align: 8
    .kernarg_segment_size: 280
    .language:       OpenCL C
    .language_version:
      - 2
      - 0
    .max_flat_workgroup_size: 128
    .name:           _Z6kernelI14exclusive_scandLj128ELj64ELj100EEvPKT0_PS1_S1_
    .private_segment_fixed_size: 0
    .sgpr_count:     23
    .sgpr_spill_count: 0
    .symbol:         _Z6kernelI14exclusive_scandLj128ELj64ELj100EEvPKT0_PS1_S1_.kd
    .uniform_work_group_size: 1
    .uses_dynamic_stack: false
    .vgpr_count:     7
    .vgpr_spill_count: 0
    .wavefront_size: 64
  - .args:
      - .address_space:  global
        .offset:         0
        .size:           8
        .value_kind:     global_buffer
      - .address_space:  global
        .offset:         8
        .size:           8
        .value_kind:     global_buffer
      - .offset:         16
        .size:           8
        .value_kind:     by_value
      - .offset:         24
        .size:           4
        .value_kind:     hidden_block_count_x
      - .offset:         28
        .size:           4
        .value_kind:     hidden_block_count_y
      - .offset:         32
        .size:           4
        .value_kind:     hidden_block_count_z
      - .offset:         36
        .size:           2
        .value_kind:     hidden_group_size_x
      - .offset:         38
        .size:           2
        .value_kind:     hidden_group_size_y
      - .offset:         40
        .size:           2
        .value_kind:     hidden_group_size_z
      - .offset:         42
        .size:           2
        .value_kind:     hidden_remainder_x
      - .offset:         44
        .size:           2
        .value_kind:     hidden_remainder_y
      - .offset:         46
        .size:           2
        .value_kind:     hidden_remainder_z
      - .offset:         64
        .size:           8
        .value_kind:     hidden_global_offset_x
      - .offset:         72
        .size:           8
        .value_kind:     hidden_global_offset_y
      - .offset:         80
        .size:           8
        .value_kind:     hidden_global_offset_z
      - .offset:         88
        .size:           2
        .value_kind:     hidden_grid_dims
    .group_segment_fixed_size: 0
    .kernarg_segment_align: 8
    .kernarg_segment_size: 280
    .language:       OpenCL C
    .language_version:
      - 2
      - 0
    .max_flat_workgroup_size: 256
    .name:           _Z6kernelI14exclusive_scandLj256ELj64ELj100EEvPKT0_PS1_S1_
    .private_segment_fixed_size: 0
    .sgpr_count:     23
    .sgpr_spill_count: 0
    .symbol:         _Z6kernelI14exclusive_scandLj256ELj64ELj100EEvPKT0_PS1_S1_.kd
    .uniform_work_group_size: 1
    .uses_dynamic_stack: false
    .vgpr_count:     7
    .vgpr_spill_count: 0
    .wavefront_size: 64
  - .args:
      - .address_space:  global
        .offset:         0
        .size:           8
        .value_kind:     global_buffer
      - .address_space:  global
        .offset:         8
        .size:           8
        .value_kind:     global_buffer
      - .offset:         16
        .size:           1
        .value_kind:     by_value
      - .offset:         24
        .size:           4
        .value_kind:     hidden_block_count_x
      - .offset:         28
        .size:           4
        .value_kind:     hidden_block_count_y
      - .offset:         32
        .size:           4
        .value_kind:     hidden_block_count_z
      - .offset:         36
        .size:           2
        .value_kind:     hidden_group_size_x
      - .offset:         38
        .size:           2
        .value_kind:     hidden_group_size_y
      - .offset:         40
        .size:           2
        .value_kind:     hidden_group_size_z
      - .offset:         42
        .size:           2
        .value_kind:     hidden_remainder_x
      - .offset:         44
        .size:           2
        .value_kind:     hidden_remainder_y
      - .offset:         46
        .size:           2
        .value_kind:     hidden_remainder_z
      - .offset:         64
        .size:           8
        .value_kind:     hidden_global_offset_x
      - .offset:         72
        .size:           8
        .value_kind:     hidden_global_offset_y
      - .offset:         80
        .size:           8
        .value_kind:     hidden_global_offset_z
      - .offset:         88
        .size:           2
        .value_kind:     hidden_grid_dims
    .group_segment_fixed_size: 15
    .kernarg_segment_align: 8
    .kernarg_segment_size: 280
    .language:       OpenCL C
    .language_version:
      - 2
      - 0
    .max_flat_workgroup_size: 60
    .name:           _Z6kernelI14exclusive_scanaLj60ELj15ELj100EEvPKT0_PS1_S1_
    .private_segment_fixed_size: 0
    .sgpr_count:     17
    .sgpr_spill_count: 0
    .symbol:         _Z6kernelI14exclusive_scanaLj60ELj15ELj100EEvPKT0_PS1_S1_.kd
    .uniform_work_group_size: 1
    .uses_dynamic_stack: false
    .vgpr_count:     8
    .vgpr_spill_count: 0
    .wavefront_size: 64
  - .args:
      - .address_space:  global
        .offset:         0
        .size:           8
        .value_kind:     global_buffer
      - .address_space:  global
        .offset:         8
        .size:           8
        .value_kind:     global_buffer
      - .offset:         16
        .size:           1
        .value_kind:     by_value
      - .offset:         24
        .size:           4
        .value_kind:     hidden_block_count_x
      - .offset:         28
        .size:           4
        .value_kind:     hidden_block_count_y
      - .offset:         32
        .size:           4
        .value_kind:     hidden_block_count_z
      - .offset:         36
        .size:           2
        .value_kind:     hidden_group_size_x
      - .offset:         38
        .size:           2
        .value_kind:     hidden_group_size_y
      - .offset:         40
        .size:           2
        .value_kind:     hidden_group_size_z
      - .offset:         42
        .size:           2
        .value_kind:     hidden_remainder_x
      - .offset:         44
        .size:           2
        .value_kind:     hidden_remainder_y
      - .offset:         46
        .size:           2
        .value_kind:     hidden_remainder_z
      - .offset:         64
        .size:           8
        .value_kind:     hidden_global_offset_x
      - .offset:         72
        .size:           8
        .value_kind:     hidden_global_offset_y
      - .offset:         80
        .size:           8
        .value_kind:     hidden_global_offset_z
      - .offset:         88
        .size:           2
        .value_kind:     hidden_grid_dims
    .group_segment_fixed_size: 0
    .kernarg_segment_align: 8
    .kernarg_segment_size: 280
    .language:       OpenCL C
    .language_version:
      - 2
      - 0
    .max_flat_workgroup_size: 256
    .name:           _Z6kernelI14exclusive_scanaLj256ELj16ELj100EEvPKT0_PS1_S1_
    .private_segment_fixed_size: 0
    .sgpr_count:     17
    .sgpr_spill_count: 0
    .symbol:         _Z6kernelI14exclusive_scanaLj256ELj16ELj100EEvPKT0_PS1_S1_.kd
    .uniform_work_group_size: 1
    .uses_dynamic_stack: false
    .vgpr_count:     5
    .vgpr_spill_count: 0
    .wavefront_size: 64
  - .args:
      - .address_space:  global
        .offset:         0
        .size:           8
        .value_kind:     global_buffer
      - .address_space:  global
        .offset:         8
        .size:           8
        .value_kind:     global_buffer
      - .offset:         16
        .size:           1
        .value_kind:     by_value
      - .offset:         24
        .size:           4
        .value_kind:     hidden_block_count_x
      - .offset:         28
        .size:           4
        .value_kind:     hidden_block_count_y
      - .offset:         32
        .size:           4
        .value_kind:     hidden_block_count_z
      - .offset:         36
        .size:           2
        .value_kind:     hidden_group_size_x
      - .offset:         38
        .size:           2
        .value_kind:     hidden_group_size_y
      - .offset:         40
        .size:           2
        .value_kind:     hidden_group_size_z
      - .offset:         42
        .size:           2
        .value_kind:     hidden_remainder_x
      - .offset:         44
        .size:           2
        .value_kind:     hidden_remainder_y
      - .offset:         46
        .size:           2
        .value_kind:     hidden_remainder_z
      - .offset:         64
        .size:           8
        .value_kind:     hidden_global_offset_x
      - .offset:         72
        .size:           8
        .value_kind:     hidden_global_offset_y
      - .offset:         80
        .size:           8
        .value_kind:     hidden_global_offset_z
      - .offset:         88
        .size:           2
        .value_kind:     hidden_grid_dims
    .group_segment_fixed_size: 31
    .kernarg_segment_align: 8
    .kernarg_segment_size: 280
    .language:       OpenCL C
    .language_version:
      - 2
      - 0
    .max_flat_workgroup_size: 62
    .name:           _Z6kernelI14exclusive_scanaLj62ELj31ELj100EEvPKT0_PS1_S1_
    .private_segment_fixed_size: 0
    .sgpr_count:     18
    .sgpr_spill_count: 0
    .symbol:         _Z6kernelI14exclusive_scanaLj62ELj31ELj100EEvPKT0_PS1_S1_.kd
    .uniform_work_group_size: 1
    .uses_dynamic_stack: false
    .vgpr_count:     9
    .vgpr_spill_count: 0
    .wavefront_size: 64
  - .args:
      - .address_space:  global
        .offset:         0
        .size:           8
        .value_kind:     global_buffer
      - .address_space:  global
        .offset:         8
        .size:           8
        .value_kind:     global_buffer
      - .offset:         16
        .size:           1
        .value_kind:     by_value
      - .offset:         24
        .size:           4
        .value_kind:     hidden_block_count_x
      - .offset:         28
        .size:           4
        .value_kind:     hidden_block_count_y
      - .offset:         32
        .size:           4
        .value_kind:     hidden_block_count_z
      - .offset:         36
        .size:           2
        .value_kind:     hidden_group_size_x
      - .offset:         38
        .size:           2
        .value_kind:     hidden_group_size_y
      - .offset:         40
        .size:           2
        .value_kind:     hidden_group_size_z
      - .offset:         42
        .size:           2
        .value_kind:     hidden_remainder_x
      - .offset:         44
        .size:           2
        .value_kind:     hidden_remainder_y
      - .offset:         46
        .size:           2
        .value_kind:     hidden_remainder_z
      - .offset:         64
        .size:           8
        .value_kind:     hidden_global_offset_x
      - .offset:         72
        .size:           8
        .value_kind:     hidden_global_offset_y
      - .offset:         80
        .size:           8
        .value_kind:     hidden_global_offset_z
      - .offset:         88
        .size:           2
        .value_kind:     hidden_grid_dims
    .group_segment_fixed_size: 0
    .kernarg_segment_align: 8
    .kernarg_segment_size: 280
    .language:       OpenCL C
    .language_version:
      - 2
      - 0
    .max_flat_workgroup_size: 256
    .name:           _Z6kernelI14exclusive_scanaLj256ELj32ELj100EEvPKT0_PS1_S1_
    .private_segment_fixed_size: 0
    .sgpr_count:     18
    .sgpr_spill_count: 0
    .symbol:         _Z6kernelI14exclusive_scanaLj256ELj32ELj100EEvPKT0_PS1_S1_.kd
    .uniform_work_group_size: 1
    .uses_dynamic_stack: false
    .vgpr_count:     5
    .vgpr_spill_count: 0
    .wavefront_size: 64
  - .args:
      - .address_space:  global
        .offset:         0
        .size:           8
        .value_kind:     global_buffer
      - .address_space:  global
        .offset:         8
        .size:           8
        .value_kind:     global_buffer
      - .offset:         16
        .size:           1
        .value_kind:     by_value
      - .offset:         24
        .size:           4
        .value_kind:     hidden_block_count_x
      - .offset:         28
        .size:           4
        .value_kind:     hidden_block_count_y
      - .offset:         32
        .size:           4
        .value_kind:     hidden_block_count_z
      - .offset:         36
        .size:           2
        .value_kind:     hidden_group_size_x
      - .offset:         38
        .size:           2
        .value_kind:     hidden_group_size_y
      - .offset:         40
        .size:           2
        .value_kind:     hidden_group_size_z
      - .offset:         42
        .size:           2
        .value_kind:     hidden_remainder_x
      - .offset:         44
        .size:           2
        .value_kind:     hidden_remainder_y
      - .offset:         46
        .size:           2
        .value_kind:     hidden_remainder_z
      - .offset:         64
        .size:           8
        .value_kind:     hidden_global_offset_x
      - .offset:         72
        .size:           8
        .value_kind:     hidden_global_offset_y
      - .offset:         80
        .size:           8
        .value_kind:     hidden_global_offset_z
      - .offset:         88
        .size:           2
        .value_kind:     hidden_grid_dims
    .group_segment_fixed_size: 63
    .kernarg_segment_align: 8
    .kernarg_segment_size: 280
    .language:       OpenCL C
    .language_version:
      - 2
      - 0
    .max_flat_workgroup_size: 63
    .name:           _Z6kernelI14exclusive_scanaLj63ELj63ELj100EEvPKT0_PS1_S1_
    .private_segment_fixed_size: 0
    .sgpr_count:     20
    .sgpr_spill_count: 0
    .symbol:         _Z6kernelI14exclusive_scanaLj63ELj63ELj100EEvPKT0_PS1_S1_.kd
    .uniform_work_group_size: 1
    .uses_dynamic_stack: false
    .vgpr_count:     10
    .vgpr_spill_count: 0
    .wavefront_size: 64
  - .args:
      - .address_space:  global
        .offset:         0
        .size:           8
        .value_kind:     global_buffer
      - .address_space:  global
        .offset:         8
        .size:           8
        .value_kind:     global_buffer
      - .offset:         16
        .size:           1
        .value_kind:     by_value
      - .offset:         24
        .size:           4
        .value_kind:     hidden_block_count_x
      - .offset:         28
        .size:           4
        .value_kind:     hidden_block_count_y
      - .offset:         32
        .size:           4
        .value_kind:     hidden_block_count_z
      - .offset:         36
        .size:           2
        .value_kind:     hidden_group_size_x
      - .offset:         38
        .size:           2
        .value_kind:     hidden_group_size_y
      - .offset:         40
        .size:           2
        .value_kind:     hidden_group_size_z
      - .offset:         42
        .size:           2
        .value_kind:     hidden_remainder_x
      - .offset:         44
        .size:           2
        .value_kind:     hidden_remainder_y
      - .offset:         46
        .size:           2
        .value_kind:     hidden_remainder_z
      - .offset:         64
        .size:           8
        .value_kind:     hidden_global_offset_x
      - .offset:         72
        .size:           8
        .value_kind:     hidden_global_offset_y
      - .offset:         80
        .size:           8
        .value_kind:     hidden_global_offset_z
      - .offset:         88
        .size:           2
        .value_kind:     hidden_grid_dims
    .group_segment_fixed_size: 0
    .kernarg_segment_align: 8
    .kernarg_segment_size: 280
    .language:       OpenCL C
    .language_version:
      - 2
      - 0
    .max_flat_workgroup_size: 64
    .name:           _Z6kernelI14exclusive_scanaLj64ELj64ELj100EEvPKT0_PS1_S1_
    .private_segment_fixed_size: 0
    .sgpr_count:     21
    .sgpr_spill_count: 0
    .symbol:         _Z6kernelI14exclusive_scanaLj64ELj64ELj100EEvPKT0_PS1_S1_.kd
    .uniform_work_group_size: 1
    .uses_dynamic_stack: false
    .vgpr_count:     5
    .vgpr_spill_count: 0
    .wavefront_size: 64
  - .args:
      - .address_space:  global
        .offset:         0
        .size:           8
        .value_kind:     global_buffer
      - .address_space:  global
        .offset:         8
        .size:           8
        .value_kind:     global_buffer
      - .offset:         16
        .size:           1
        .value_kind:     by_value
      - .offset:         24
        .size:           4
        .value_kind:     hidden_block_count_x
      - .offset:         28
        .size:           4
        .value_kind:     hidden_block_count_y
      - .offset:         32
        .size:           4
        .value_kind:     hidden_block_count_z
      - .offset:         36
        .size:           2
        .value_kind:     hidden_group_size_x
      - .offset:         38
        .size:           2
        .value_kind:     hidden_group_size_y
      - .offset:         40
        .size:           2
        .value_kind:     hidden_group_size_z
      - .offset:         42
        .size:           2
        .value_kind:     hidden_remainder_x
      - .offset:         44
        .size:           2
        .value_kind:     hidden_remainder_y
      - .offset:         46
        .size:           2
        .value_kind:     hidden_remainder_z
      - .offset:         64
        .size:           8
        .value_kind:     hidden_global_offset_x
      - .offset:         72
        .size:           8
        .value_kind:     hidden_global_offset_y
      - .offset:         80
        .size:           8
        .value_kind:     hidden_global_offset_z
      - .offset:         88
        .size:           2
        .value_kind:     hidden_grid_dims
    .group_segment_fixed_size: 0
    .kernarg_segment_align: 8
    .kernarg_segment_size: 280
    .language:       OpenCL C
    .language_version:
      - 2
      - 0
    .max_flat_workgroup_size: 128
    .name:           _Z6kernelI14exclusive_scanaLj128ELj64ELj100EEvPKT0_PS1_S1_
    .private_segment_fixed_size: 0
    .sgpr_count:     21
    .sgpr_spill_count: 0
    .symbol:         _Z6kernelI14exclusive_scanaLj128ELj64ELj100EEvPKT0_PS1_S1_.kd
    .uniform_work_group_size: 1
    .uses_dynamic_stack: false
    .vgpr_count:     5
    .vgpr_spill_count: 0
    .wavefront_size: 64
  - .args:
      - .address_space:  global
        .offset:         0
        .size:           8
        .value_kind:     global_buffer
      - .address_space:  global
        .offset:         8
        .size:           8
        .value_kind:     global_buffer
      - .offset:         16
        .size:           1
        .value_kind:     by_value
      - .offset:         24
        .size:           4
        .value_kind:     hidden_block_count_x
      - .offset:         28
        .size:           4
        .value_kind:     hidden_block_count_y
      - .offset:         32
        .size:           4
        .value_kind:     hidden_block_count_z
      - .offset:         36
        .size:           2
        .value_kind:     hidden_group_size_x
      - .offset:         38
        .size:           2
        .value_kind:     hidden_group_size_y
      - .offset:         40
        .size:           2
        .value_kind:     hidden_group_size_z
      - .offset:         42
        .size:           2
        .value_kind:     hidden_remainder_x
      - .offset:         44
        .size:           2
        .value_kind:     hidden_remainder_y
      - .offset:         46
        .size:           2
        .value_kind:     hidden_remainder_z
      - .offset:         64
        .size:           8
        .value_kind:     hidden_global_offset_x
      - .offset:         72
        .size:           8
        .value_kind:     hidden_global_offset_y
      - .offset:         80
        .size:           8
        .value_kind:     hidden_global_offset_z
      - .offset:         88
        .size:           2
        .value_kind:     hidden_grid_dims
    .group_segment_fixed_size: 0
    .kernarg_segment_align: 8
    .kernarg_segment_size: 280
    .language:       OpenCL C
    .language_version:
      - 2
      - 0
    .max_flat_workgroup_size: 256
    .name:           _Z6kernelI14exclusive_scanaLj256ELj64ELj100EEvPKT0_PS1_S1_
    .private_segment_fixed_size: 0
    .sgpr_count:     21
    .sgpr_spill_count: 0
    .symbol:         _Z6kernelI14exclusive_scanaLj256ELj64ELj100EEvPKT0_PS1_S1_.kd
    .uniform_work_group_size: 1
    .uses_dynamic_stack: false
    .vgpr_count:     5
    .vgpr_spill_count: 0
    .wavefront_size: 64
  - .args:
      - .address_space:  global
        .offset:         0
        .size:           8
        .value_kind:     global_buffer
      - .address_space:  global
        .offset:         8
        .size:           8
        .value_kind:     global_buffer
      - .offset:         16
        .size:           16
        .value_kind:     by_value
      - .offset:         32
        .size:           4
        .value_kind:     hidden_block_count_x
      - .offset:         36
        .size:           4
        .value_kind:     hidden_block_count_y
      - .offset:         40
        .size:           4
        .value_kind:     hidden_block_count_z
      - .offset:         44
        .size:           2
        .value_kind:     hidden_group_size_x
      - .offset:         46
        .size:           2
        .value_kind:     hidden_group_size_y
      - .offset:         48
        .size:           2
        .value_kind:     hidden_group_size_z
      - .offset:         50
        .size:           2
        .value_kind:     hidden_remainder_x
      - .offset:         52
        .size:           2
        .value_kind:     hidden_remainder_y
      - .offset:         54
        .size:           2
        .value_kind:     hidden_remainder_z
      - .offset:         72
        .size:           8
        .value_kind:     hidden_global_offset_x
      - .offset:         80
        .size:           8
        .value_kind:     hidden_global_offset_y
      - .offset:         88
        .size:           8
        .value_kind:     hidden_global_offset_z
      - .offset:         96
        .size:           2
        .value_kind:     hidden_grid_dims
    .group_segment_fixed_size: 240
    .kernarg_segment_align: 8
    .kernarg_segment_size: 288
    .language:       OpenCL C
    .language_version:
      - 2
      - 0
    .max_flat_workgroup_size: 60
    .name:           _Z6kernelI14exclusive_scanN15benchmark_utils11custom_typeIddEELj60ELj15ELj100EEvPKT0_PS4_S4_
    .private_segment_fixed_size: 0
    .sgpr_count:     20
    .sgpr_spill_count: 0
    .symbol:         _Z6kernelI14exclusive_scanN15benchmark_utils11custom_typeIddEELj60ELj15ELj100EEvPKT0_PS4_S4_.kd
    .uniform_work_group_size: 1
    .uses_dynamic_stack: false
    .vgpr_count:     15
    .vgpr_spill_count: 0
    .wavefront_size: 64
  - .args:
      - .address_space:  global
        .offset:         0
        .size:           8
        .value_kind:     global_buffer
      - .address_space:  global
        .offset:         8
        .size:           8
        .value_kind:     global_buffer
      - .offset:         16
        .size:           16
        .value_kind:     by_value
      - .offset:         32
        .size:           4
        .value_kind:     hidden_block_count_x
      - .offset:         36
        .size:           4
        .value_kind:     hidden_block_count_y
      - .offset:         40
        .size:           4
        .value_kind:     hidden_block_count_z
      - .offset:         44
        .size:           2
        .value_kind:     hidden_group_size_x
      - .offset:         46
        .size:           2
        .value_kind:     hidden_group_size_y
      - .offset:         48
        .size:           2
        .value_kind:     hidden_group_size_z
      - .offset:         50
        .size:           2
        .value_kind:     hidden_remainder_x
      - .offset:         52
        .size:           2
        .value_kind:     hidden_remainder_y
      - .offset:         54
        .size:           2
        .value_kind:     hidden_remainder_z
      - .offset:         72
        .size:           8
        .value_kind:     hidden_global_offset_x
      - .offset:         80
        .size:           8
        .value_kind:     hidden_global_offset_y
      - .offset:         88
        .size:           8
        .value_kind:     hidden_global_offset_z
      - .offset:         96
        .size:           2
        .value_kind:     hidden_grid_dims
    .group_segment_fixed_size: 0
    .kernarg_segment_align: 8
    .kernarg_segment_size: 288
    .language:       OpenCL C
    .language_version:
      - 2
      - 0
    .max_flat_workgroup_size: 256
    .name:           _Z6kernelI14exclusive_scanN15benchmark_utils11custom_typeIddEELj256ELj16ELj100EEvPKT0_PS4_S4_
    .private_segment_fixed_size: 0
    .sgpr_count:     21
    .sgpr_spill_count: 0
    .symbol:         _Z6kernelI14exclusive_scanN15benchmark_utils11custom_typeIddEELj256ELj16ELj100EEvPKT0_PS4_S4_.kd
    .uniform_work_group_size: 1
    .uses_dynamic_stack: false
    .vgpr_count:     11
    .vgpr_spill_count: 0
    .wavefront_size: 64
  - .args:
      - .address_space:  global
        .offset:         0
        .size:           8
        .value_kind:     global_buffer
      - .address_space:  global
        .offset:         8
        .size:           8
        .value_kind:     global_buffer
      - .offset:         16
        .size:           16
        .value_kind:     by_value
      - .offset:         32
        .size:           4
        .value_kind:     hidden_block_count_x
      - .offset:         36
        .size:           4
        .value_kind:     hidden_block_count_y
      - .offset:         40
        .size:           4
        .value_kind:     hidden_block_count_z
      - .offset:         44
        .size:           2
        .value_kind:     hidden_group_size_x
      - .offset:         46
        .size:           2
        .value_kind:     hidden_group_size_y
      - .offset:         48
        .size:           2
        .value_kind:     hidden_group_size_z
      - .offset:         50
        .size:           2
        .value_kind:     hidden_remainder_x
      - .offset:         52
        .size:           2
        .value_kind:     hidden_remainder_y
      - .offset:         54
        .size:           2
        .value_kind:     hidden_remainder_z
      - .offset:         72
        .size:           8
        .value_kind:     hidden_global_offset_x
      - .offset:         80
        .size:           8
        .value_kind:     hidden_global_offset_y
      - .offset:         88
        .size:           8
        .value_kind:     hidden_global_offset_z
      - .offset:         96
        .size:           2
        .value_kind:     hidden_grid_dims
    .group_segment_fixed_size: 496
    .kernarg_segment_align: 8
    .kernarg_segment_size: 288
    .language:       OpenCL C
    .language_version:
      - 2
      - 0
    .max_flat_workgroup_size: 62
    .name:           _Z6kernelI14exclusive_scanN15benchmark_utils11custom_typeIddEELj62ELj31ELj100EEvPKT0_PS4_S4_
    .private_segment_fixed_size: 0
    .sgpr_count:     21
    .sgpr_spill_count: 0
    .symbol:         _Z6kernelI14exclusive_scanN15benchmark_utils11custom_typeIddEELj62ELj31ELj100EEvPKT0_PS4_S4_.kd
    .uniform_work_group_size: 1
    .uses_dynamic_stack: false
    .vgpr_count:     16
    .vgpr_spill_count: 0
    .wavefront_size: 64
  - .args:
      - .address_space:  global
        .offset:         0
        .size:           8
        .value_kind:     global_buffer
      - .address_space:  global
        .offset:         8
        .size:           8
        .value_kind:     global_buffer
      - .offset:         16
        .size:           16
        .value_kind:     by_value
      - .offset:         32
        .size:           4
        .value_kind:     hidden_block_count_x
      - .offset:         36
        .size:           4
        .value_kind:     hidden_block_count_y
      - .offset:         40
        .size:           4
        .value_kind:     hidden_block_count_z
      - .offset:         44
        .size:           2
        .value_kind:     hidden_group_size_x
      - .offset:         46
        .size:           2
        .value_kind:     hidden_group_size_y
      - .offset:         48
        .size:           2
        .value_kind:     hidden_group_size_z
      - .offset:         50
        .size:           2
        .value_kind:     hidden_remainder_x
      - .offset:         52
        .size:           2
        .value_kind:     hidden_remainder_y
      - .offset:         54
        .size:           2
        .value_kind:     hidden_remainder_z
      - .offset:         72
        .size:           8
        .value_kind:     hidden_global_offset_x
      - .offset:         80
        .size:           8
        .value_kind:     hidden_global_offset_y
      - .offset:         88
        .size:           8
        .value_kind:     hidden_global_offset_z
      - .offset:         96
        .size:           2
        .value_kind:     hidden_grid_dims
    .group_segment_fixed_size: 0
    .kernarg_segment_align: 8
    .kernarg_segment_size: 288
    .language:       OpenCL C
    .language_version:
      - 2
      - 0
    .max_flat_workgroup_size: 256
    .name:           _Z6kernelI14exclusive_scanN15benchmark_utils11custom_typeIddEELj256ELj32ELj100EEvPKT0_PS4_S4_
    .private_segment_fixed_size: 0
    .sgpr_count:     23
    .sgpr_spill_count: 0
    .symbol:         _Z6kernelI14exclusive_scanN15benchmark_utils11custom_typeIddEELj256ELj32ELj100EEvPKT0_PS4_S4_.kd
    .uniform_work_group_size: 1
    .uses_dynamic_stack: false
    .vgpr_count:     11
    .vgpr_spill_count: 0
    .wavefront_size: 64
  - .args:
      - .address_space:  global
        .offset:         0
        .size:           8
        .value_kind:     global_buffer
      - .address_space:  global
        .offset:         8
        .size:           8
        .value_kind:     global_buffer
      - .offset:         16
        .size:           16
        .value_kind:     by_value
      - .offset:         32
        .size:           4
        .value_kind:     hidden_block_count_x
      - .offset:         36
        .size:           4
        .value_kind:     hidden_block_count_y
      - .offset:         40
        .size:           4
        .value_kind:     hidden_block_count_z
      - .offset:         44
        .size:           2
        .value_kind:     hidden_group_size_x
      - .offset:         46
        .size:           2
        .value_kind:     hidden_group_size_y
      - .offset:         48
        .size:           2
        .value_kind:     hidden_group_size_z
      - .offset:         50
        .size:           2
        .value_kind:     hidden_remainder_x
      - .offset:         52
        .size:           2
        .value_kind:     hidden_remainder_y
      - .offset:         54
        .size:           2
        .value_kind:     hidden_remainder_z
      - .offset:         72
        .size:           8
        .value_kind:     hidden_global_offset_x
      - .offset:         80
        .size:           8
        .value_kind:     hidden_global_offset_y
      - .offset:         88
        .size:           8
        .value_kind:     hidden_global_offset_z
      - .offset:         96
        .size:           2
        .value_kind:     hidden_grid_dims
    .group_segment_fixed_size: 1008
    .kernarg_segment_align: 8
    .kernarg_segment_size: 288
    .language:       OpenCL C
    .language_version:
      - 2
      - 0
    .max_flat_workgroup_size: 63
    .name:           _Z6kernelI14exclusive_scanN15benchmark_utils11custom_typeIddEELj63ELj63ELj100EEvPKT0_PS4_S4_
    .private_segment_fixed_size: 0
    .sgpr_count:     23
    .sgpr_spill_count: 0
    .symbol:         _Z6kernelI14exclusive_scanN15benchmark_utils11custom_typeIddEELj63ELj63ELj100EEvPKT0_PS4_S4_.kd
    .uniform_work_group_size: 1
    .uses_dynamic_stack: false
    .vgpr_count:     17
    .vgpr_spill_count: 0
    .wavefront_size: 64
  - .args:
      - .address_space:  global
        .offset:         0
        .size:           8
        .value_kind:     global_buffer
      - .address_space:  global
        .offset:         8
        .size:           8
        .value_kind:     global_buffer
      - .offset:         16
        .size:           16
        .value_kind:     by_value
      - .offset:         32
        .size:           4
        .value_kind:     hidden_block_count_x
      - .offset:         36
        .size:           4
        .value_kind:     hidden_block_count_y
      - .offset:         40
        .size:           4
        .value_kind:     hidden_block_count_z
      - .offset:         44
        .size:           2
        .value_kind:     hidden_group_size_x
      - .offset:         46
        .size:           2
        .value_kind:     hidden_group_size_y
      - .offset:         48
        .size:           2
        .value_kind:     hidden_group_size_z
      - .offset:         50
        .size:           2
        .value_kind:     hidden_remainder_x
      - .offset:         52
        .size:           2
        .value_kind:     hidden_remainder_y
      - .offset:         54
        .size:           2
        .value_kind:     hidden_remainder_z
      - .offset:         72
        .size:           8
        .value_kind:     hidden_global_offset_x
      - .offset:         80
        .size:           8
        .value_kind:     hidden_global_offset_y
      - .offset:         88
        .size:           8
        .value_kind:     hidden_global_offset_z
      - .offset:         96
        .size:           2
        .value_kind:     hidden_grid_dims
    .group_segment_fixed_size: 0
    .kernarg_segment_align: 8
    .kernarg_segment_size: 288
    .language:       OpenCL C
    .language_version:
      - 2
      - 0
    .max_flat_workgroup_size: 64
    .name:           _Z6kernelI14exclusive_scanN15benchmark_utils11custom_typeIddEELj64ELj64ELj100EEvPKT0_PS4_S4_
    .private_segment_fixed_size: 0
    .sgpr_count:     25
    .sgpr_spill_count: 0
    .symbol:         _Z6kernelI14exclusive_scanN15benchmark_utils11custom_typeIddEELj64ELj64ELj100EEvPKT0_PS4_S4_.kd
    .uniform_work_group_size: 1
    .uses_dynamic_stack: false
    .vgpr_count:     11
    .vgpr_spill_count: 0
    .wavefront_size: 64
  - .args:
      - .address_space:  global
        .offset:         0
        .size:           8
        .value_kind:     global_buffer
      - .address_space:  global
        .offset:         8
        .size:           8
        .value_kind:     global_buffer
      - .offset:         16
        .size:           16
        .value_kind:     by_value
      - .offset:         32
        .size:           4
        .value_kind:     hidden_block_count_x
      - .offset:         36
        .size:           4
        .value_kind:     hidden_block_count_y
      - .offset:         40
        .size:           4
        .value_kind:     hidden_block_count_z
      - .offset:         44
        .size:           2
        .value_kind:     hidden_group_size_x
      - .offset:         46
        .size:           2
        .value_kind:     hidden_group_size_y
      - .offset:         48
        .size:           2
        .value_kind:     hidden_group_size_z
      - .offset:         50
        .size:           2
        .value_kind:     hidden_remainder_x
      - .offset:         52
        .size:           2
        .value_kind:     hidden_remainder_y
      - .offset:         54
        .size:           2
        .value_kind:     hidden_remainder_z
      - .offset:         72
        .size:           8
        .value_kind:     hidden_global_offset_x
      - .offset:         80
        .size:           8
        .value_kind:     hidden_global_offset_y
      - .offset:         88
        .size:           8
        .value_kind:     hidden_global_offset_z
      - .offset:         96
        .size:           2
        .value_kind:     hidden_grid_dims
    .group_segment_fixed_size: 0
    .kernarg_segment_align: 8
    .kernarg_segment_size: 288
    .language:       OpenCL C
    .language_version:
      - 2
      - 0
    .max_flat_workgroup_size: 128
    .name:           _Z6kernelI14exclusive_scanN15benchmark_utils11custom_typeIddEELj128ELj64ELj100EEvPKT0_PS4_S4_
    .private_segment_fixed_size: 0
    .sgpr_count:     25
    .sgpr_spill_count: 0
    .symbol:         _Z6kernelI14exclusive_scanN15benchmark_utils11custom_typeIddEELj128ELj64ELj100EEvPKT0_PS4_S4_.kd
    .uniform_work_group_size: 1
    .uses_dynamic_stack: false
    .vgpr_count:     11
    .vgpr_spill_count: 0
    .wavefront_size: 64
  - .args:
      - .address_space:  global
        .offset:         0
        .size:           8
        .value_kind:     global_buffer
      - .address_space:  global
        .offset:         8
        .size:           8
        .value_kind:     global_buffer
      - .offset:         16
        .size:           16
        .value_kind:     by_value
      - .offset:         32
        .size:           4
        .value_kind:     hidden_block_count_x
      - .offset:         36
        .size:           4
        .value_kind:     hidden_block_count_y
      - .offset:         40
        .size:           4
        .value_kind:     hidden_block_count_z
      - .offset:         44
        .size:           2
        .value_kind:     hidden_group_size_x
      - .offset:         46
        .size:           2
        .value_kind:     hidden_group_size_y
      - .offset:         48
        .size:           2
        .value_kind:     hidden_group_size_z
      - .offset:         50
        .size:           2
        .value_kind:     hidden_remainder_x
      - .offset:         52
        .size:           2
        .value_kind:     hidden_remainder_y
      - .offset:         54
        .size:           2
        .value_kind:     hidden_remainder_z
      - .offset:         72
        .size:           8
        .value_kind:     hidden_global_offset_x
      - .offset:         80
        .size:           8
        .value_kind:     hidden_global_offset_y
      - .offset:         88
        .size:           8
        .value_kind:     hidden_global_offset_z
      - .offset:         96
        .size:           2
        .value_kind:     hidden_grid_dims
    .group_segment_fixed_size: 0
    .kernarg_segment_align: 8
    .kernarg_segment_size: 288
    .language:       OpenCL C
    .language_version:
      - 2
      - 0
    .max_flat_workgroup_size: 256
    .name:           _Z6kernelI14exclusive_scanN15benchmark_utils11custom_typeIddEELj256ELj64ELj100EEvPKT0_PS4_S4_
    .private_segment_fixed_size: 0
    .sgpr_count:     25
    .sgpr_spill_count: 0
    .symbol:         _Z6kernelI14exclusive_scanN15benchmark_utils11custom_typeIddEELj256ELj64ELj100EEvPKT0_PS4_S4_.kd
    .uniform_work_group_size: 1
    .uses_dynamic_stack: false
    .vgpr_count:     11
    .vgpr_spill_count: 0
    .wavefront_size: 64
  - .args:
      - .address_space:  global
        .offset:         0
        .size:           8
        .value_kind:     global_buffer
      - .address_space:  global
        .offset:         8
        .size:           8
        .value_kind:     global_buffer
      - .offset:         16
        .size:           16
        .value_kind:     by_value
      - .offset:         32
        .size:           4
        .value_kind:     hidden_block_count_x
      - .offset:         36
        .size:           4
        .value_kind:     hidden_block_count_y
      - .offset:         40
        .size:           4
        .value_kind:     hidden_block_count_z
      - .offset:         44
        .size:           2
        .value_kind:     hidden_group_size_x
      - .offset:         46
        .size:           2
        .value_kind:     hidden_group_size_y
      - .offset:         48
        .size:           2
        .value_kind:     hidden_group_size_z
      - .offset:         50
        .size:           2
        .value_kind:     hidden_remainder_x
      - .offset:         52
        .size:           2
        .value_kind:     hidden_remainder_y
      - .offset:         54
        .size:           2
        .value_kind:     hidden_remainder_z
      - .offset:         72
        .size:           8
        .value_kind:     hidden_global_offset_x
      - .offset:         80
        .size:           8
        .value_kind:     hidden_global_offset_y
      - .offset:         88
        .size:           8
        .value_kind:     hidden_global_offset_z
      - .offset:         96
        .size:           2
        .value_kind:     hidden_grid_dims
    .group_segment_fixed_size: 240
    .kernarg_segment_align: 8
    .kernarg_segment_size: 288
    .language:       OpenCL C
    .language_version:
      - 2
      - 0
    .max_flat_workgroup_size: 60
    .name:           _Z6kernelI14exclusive_scanN15benchmark_utils11custom_typeIidEELj60ELj15ELj100EEvPKT0_PS4_S4_
    .private_segment_fixed_size: 0
    .sgpr_count:     18
    .sgpr_spill_count: 0
    .symbol:         _Z6kernelI14exclusive_scanN15benchmark_utils11custom_typeIidEELj60ELj15ELj100EEvPKT0_PS4_S4_.kd
    .uniform_work_group_size: 1
    .uses_dynamic_stack: false
    .vgpr_count:     16
    .vgpr_spill_count: 0
    .wavefront_size: 64
  - .args:
      - .address_space:  global
        .offset:         0
        .size:           8
        .value_kind:     global_buffer
      - .address_space:  global
        .offset:         8
        .size:           8
        .value_kind:     global_buffer
      - .offset:         16
        .size:           16
        .value_kind:     by_value
      - .offset:         32
        .size:           4
        .value_kind:     hidden_block_count_x
      - .offset:         36
        .size:           4
        .value_kind:     hidden_block_count_y
      - .offset:         40
        .size:           4
        .value_kind:     hidden_block_count_z
      - .offset:         44
        .size:           2
        .value_kind:     hidden_group_size_x
      - .offset:         46
        .size:           2
        .value_kind:     hidden_group_size_y
      - .offset:         48
        .size:           2
        .value_kind:     hidden_group_size_z
      - .offset:         50
        .size:           2
        .value_kind:     hidden_remainder_x
      - .offset:         52
        .size:           2
        .value_kind:     hidden_remainder_y
      - .offset:         54
        .size:           2
        .value_kind:     hidden_remainder_z
      - .offset:         72
        .size:           8
        .value_kind:     hidden_global_offset_x
      - .offset:         80
        .size:           8
        .value_kind:     hidden_global_offset_y
      - .offset:         88
        .size:           8
        .value_kind:     hidden_global_offset_z
      - .offset:         96
        .size:           2
        .value_kind:     hidden_grid_dims
    .group_segment_fixed_size: 0
    .kernarg_segment_align: 8
    .kernarg_segment_size: 288
    .language:       OpenCL C
    .language_version:
      - 2
      - 0
    .max_flat_workgroup_size: 256
    .name:           _Z6kernelI14exclusive_scanN15benchmark_utils11custom_typeIidEELj256ELj16ELj100EEvPKT0_PS4_S4_
    .private_segment_fixed_size: 0
    .sgpr_count:     20
    .sgpr_spill_count: 0
    .symbol:         _Z6kernelI14exclusive_scanN15benchmark_utils11custom_typeIidEELj256ELj16ELj100EEvPKT0_PS4_S4_.kd
    .uniform_work_group_size: 1
    .uses_dynamic_stack: false
    .vgpr_count:     10
    .vgpr_spill_count: 0
    .wavefront_size: 64
  - .args:
      - .address_space:  global
        .offset:         0
        .size:           8
        .value_kind:     global_buffer
      - .address_space:  global
        .offset:         8
        .size:           8
        .value_kind:     global_buffer
      - .offset:         16
        .size:           16
        .value_kind:     by_value
      - .offset:         32
        .size:           4
        .value_kind:     hidden_block_count_x
      - .offset:         36
        .size:           4
        .value_kind:     hidden_block_count_y
      - .offset:         40
        .size:           4
        .value_kind:     hidden_block_count_z
      - .offset:         44
        .size:           2
        .value_kind:     hidden_group_size_x
      - .offset:         46
        .size:           2
        .value_kind:     hidden_group_size_y
      - .offset:         48
        .size:           2
        .value_kind:     hidden_group_size_z
      - .offset:         50
        .size:           2
        .value_kind:     hidden_remainder_x
      - .offset:         52
        .size:           2
        .value_kind:     hidden_remainder_y
      - .offset:         54
        .size:           2
        .value_kind:     hidden_remainder_z
      - .offset:         72
        .size:           8
        .value_kind:     hidden_global_offset_x
      - .offset:         80
        .size:           8
        .value_kind:     hidden_global_offset_y
      - .offset:         88
        .size:           8
        .value_kind:     hidden_global_offset_z
      - .offset:         96
        .size:           2
        .value_kind:     hidden_grid_dims
    .group_segment_fixed_size: 496
    .kernarg_segment_align: 8
    .kernarg_segment_size: 288
    .language:       OpenCL C
    .language_version:
      - 2
      - 0
    .max_flat_workgroup_size: 62
    .name:           _Z6kernelI14exclusive_scanN15benchmark_utils11custom_typeIidEELj62ELj31ELj100EEvPKT0_PS4_S4_
    .private_segment_fixed_size: 0
    .sgpr_count:     20
    .sgpr_spill_count: 0
    .symbol:         _Z6kernelI14exclusive_scanN15benchmark_utils11custom_typeIidEELj62ELj31ELj100EEvPKT0_PS4_S4_.kd
    .uniform_work_group_size: 1
    .uses_dynamic_stack: false
    .vgpr_count:     18
    .vgpr_spill_count: 0
    .wavefront_size: 64
  - .args:
      - .address_space:  global
        .offset:         0
        .size:           8
        .value_kind:     global_buffer
      - .address_space:  global
        .offset:         8
        .size:           8
        .value_kind:     global_buffer
      - .offset:         16
        .size:           16
        .value_kind:     by_value
      - .offset:         32
        .size:           4
        .value_kind:     hidden_block_count_x
      - .offset:         36
        .size:           4
        .value_kind:     hidden_block_count_y
      - .offset:         40
        .size:           4
        .value_kind:     hidden_block_count_z
      - .offset:         44
        .size:           2
        .value_kind:     hidden_group_size_x
      - .offset:         46
        .size:           2
        .value_kind:     hidden_group_size_y
      - .offset:         48
        .size:           2
        .value_kind:     hidden_group_size_z
      - .offset:         50
        .size:           2
        .value_kind:     hidden_remainder_x
      - .offset:         52
        .size:           2
        .value_kind:     hidden_remainder_y
      - .offset:         54
        .size:           2
        .value_kind:     hidden_remainder_z
      - .offset:         72
        .size:           8
        .value_kind:     hidden_global_offset_x
      - .offset:         80
        .size:           8
        .value_kind:     hidden_global_offset_y
      - .offset:         88
        .size:           8
        .value_kind:     hidden_global_offset_z
      - .offset:         96
        .size:           2
        .value_kind:     hidden_grid_dims
    .group_segment_fixed_size: 0
    .kernarg_segment_align: 8
    .kernarg_segment_size: 288
    .language:       OpenCL C
    .language_version:
      - 2
      - 0
    .max_flat_workgroup_size: 256
    .name:           _Z6kernelI14exclusive_scanN15benchmark_utils11custom_typeIidEELj256ELj32ELj100EEvPKT0_PS4_S4_
    .private_segment_fixed_size: 0
    .sgpr_count:     22
    .sgpr_spill_count: 0
    .symbol:         _Z6kernelI14exclusive_scanN15benchmark_utils11custom_typeIidEELj256ELj32ELj100EEvPKT0_PS4_S4_.kd
    .uniform_work_group_size: 1
    .uses_dynamic_stack: false
    .vgpr_count:     10
    .vgpr_spill_count: 0
    .wavefront_size: 64
  - .args:
      - .address_space:  global
        .offset:         0
        .size:           8
        .value_kind:     global_buffer
      - .address_space:  global
        .offset:         8
        .size:           8
        .value_kind:     global_buffer
      - .offset:         16
        .size:           16
        .value_kind:     by_value
      - .offset:         32
        .size:           4
        .value_kind:     hidden_block_count_x
      - .offset:         36
        .size:           4
        .value_kind:     hidden_block_count_y
      - .offset:         40
        .size:           4
        .value_kind:     hidden_block_count_z
      - .offset:         44
        .size:           2
        .value_kind:     hidden_group_size_x
      - .offset:         46
        .size:           2
        .value_kind:     hidden_group_size_y
      - .offset:         48
        .size:           2
        .value_kind:     hidden_group_size_z
      - .offset:         50
        .size:           2
        .value_kind:     hidden_remainder_x
      - .offset:         52
        .size:           2
        .value_kind:     hidden_remainder_y
      - .offset:         54
        .size:           2
        .value_kind:     hidden_remainder_z
      - .offset:         72
        .size:           8
        .value_kind:     hidden_global_offset_x
      - .offset:         80
        .size:           8
        .value_kind:     hidden_global_offset_y
      - .offset:         88
        .size:           8
        .value_kind:     hidden_global_offset_z
      - .offset:         96
        .size:           2
        .value_kind:     hidden_grid_dims
    .group_segment_fixed_size: 1008
    .kernarg_segment_align: 8
    .kernarg_segment_size: 288
    .language:       OpenCL C
    .language_version:
      - 2
      - 0
    .max_flat_workgroup_size: 63
    .name:           _Z6kernelI14exclusive_scanN15benchmark_utils11custom_typeIidEELj63ELj63ELj100EEvPKT0_PS4_S4_
    .private_segment_fixed_size: 0
    .sgpr_count:     22
    .sgpr_spill_count: 0
    .symbol:         _Z6kernelI14exclusive_scanN15benchmark_utils11custom_typeIidEELj63ELj63ELj100EEvPKT0_PS4_S4_.kd
    .uniform_work_group_size: 1
    .uses_dynamic_stack: false
    .vgpr_count:     20
    .vgpr_spill_count: 0
    .wavefront_size: 64
  - .args:
      - .address_space:  global
        .offset:         0
        .size:           8
        .value_kind:     global_buffer
      - .address_space:  global
        .offset:         8
        .size:           8
        .value_kind:     global_buffer
      - .offset:         16
        .size:           16
        .value_kind:     by_value
      - .offset:         32
        .size:           4
        .value_kind:     hidden_block_count_x
      - .offset:         36
        .size:           4
        .value_kind:     hidden_block_count_y
      - .offset:         40
        .size:           4
        .value_kind:     hidden_block_count_z
      - .offset:         44
        .size:           2
        .value_kind:     hidden_group_size_x
      - .offset:         46
        .size:           2
        .value_kind:     hidden_group_size_y
      - .offset:         48
        .size:           2
        .value_kind:     hidden_group_size_z
      - .offset:         50
        .size:           2
        .value_kind:     hidden_remainder_x
      - .offset:         52
        .size:           2
        .value_kind:     hidden_remainder_y
      - .offset:         54
        .size:           2
        .value_kind:     hidden_remainder_z
      - .offset:         72
        .size:           8
        .value_kind:     hidden_global_offset_x
      - .offset:         80
        .size:           8
        .value_kind:     hidden_global_offset_y
      - .offset:         88
        .size:           8
        .value_kind:     hidden_global_offset_z
      - .offset:         96
        .size:           2
        .value_kind:     hidden_grid_dims
    .group_segment_fixed_size: 0
    .kernarg_segment_align: 8
    .kernarg_segment_size: 288
    .language:       OpenCL C
    .language_version:
      - 2
      - 0
    .max_flat_workgroup_size: 64
    .name:           _Z6kernelI14exclusive_scanN15benchmark_utils11custom_typeIidEELj64ELj64ELj100EEvPKT0_PS4_S4_
    .private_segment_fixed_size: 0
    .sgpr_count:     24
    .sgpr_spill_count: 0
    .symbol:         _Z6kernelI14exclusive_scanN15benchmark_utils11custom_typeIidEELj64ELj64ELj100EEvPKT0_PS4_S4_.kd
    .uniform_work_group_size: 1
    .uses_dynamic_stack: false
    .vgpr_count:     10
    .vgpr_spill_count: 0
    .wavefront_size: 64
  - .args:
      - .address_space:  global
        .offset:         0
        .size:           8
        .value_kind:     global_buffer
      - .address_space:  global
        .offset:         8
        .size:           8
        .value_kind:     global_buffer
      - .offset:         16
        .size:           16
        .value_kind:     by_value
      - .offset:         32
        .size:           4
        .value_kind:     hidden_block_count_x
      - .offset:         36
        .size:           4
        .value_kind:     hidden_block_count_y
      - .offset:         40
        .size:           4
        .value_kind:     hidden_block_count_z
      - .offset:         44
        .size:           2
        .value_kind:     hidden_group_size_x
      - .offset:         46
        .size:           2
        .value_kind:     hidden_group_size_y
      - .offset:         48
        .size:           2
        .value_kind:     hidden_group_size_z
      - .offset:         50
        .size:           2
        .value_kind:     hidden_remainder_x
      - .offset:         52
        .size:           2
        .value_kind:     hidden_remainder_y
      - .offset:         54
        .size:           2
        .value_kind:     hidden_remainder_z
      - .offset:         72
        .size:           8
        .value_kind:     hidden_global_offset_x
      - .offset:         80
        .size:           8
        .value_kind:     hidden_global_offset_y
      - .offset:         88
        .size:           8
        .value_kind:     hidden_global_offset_z
      - .offset:         96
        .size:           2
        .value_kind:     hidden_grid_dims
    .group_segment_fixed_size: 0
    .kernarg_segment_align: 8
    .kernarg_segment_size: 288
    .language:       OpenCL C
    .language_version:
      - 2
      - 0
    .max_flat_workgroup_size: 128
    .name:           _Z6kernelI14exclusive_scanN15benchmark_utils11custom_typeIidEELj128ELj64ELj100EEvPKT0_PS4_S4_
    .private_segment_fixed_size: 0
    .sgpr_count:     24
    .sgpr_spill_count: 0
    .symbol:         _Z6kernelI14exclusive_scanN15benchmark_utils11custom_typeIidEELj128ELj64ELj100EEvPKT0_PS4_S4_.kd
    .uniform_work_group_size: 1
    .uses_dynamic_stack: false
    .vgpr_count:     10
    .vgpr_spill_count: 0
    .wavefront_size: 64
  - .args:
      - .address_space:  global
        .offset:         0
        .size:           8
        .value_kind:     global_buffer
      - .address_space:  global
        .offset:         8
        .size:           8
        .value_kind:     global_buffer
      - .offset:         16
        .size:           16
        .value_kind:     by_value
      - .offset:         32
        .size:           4
        .value_kind:     hidden_block_count_x
      - .offset:         36
        .size:           4
        .value_kind:     hidden_block_count_y
      - .offset:         40
        .size:           4
        .value_kind:     hidden_block_count_z
      - .offset:         44
        .size:           2
        .value_kind:     hidden_group_size_x
      - .offset:         46
        .size:           2
        .value_kind:     hidden_group_size_y
      - .offset:         48
        .size:           2
        .value_kind:     hidden_group_size_z
      - .offset:         50
        .size:           2
        .value_kind:     hidden_remainder_x
      - .offset:         52
        .size:           2
        .value_kind:     hidden_remainder_y
      - .offset:         54
        .size:           2
        .value_kind:     hidden_remainder_z
      - .offset:         72
        .size:           8
        .value_kind:     hidden_global_offset_x
      - .offset:         80
        .size:           8
        .value_kind:     hidden_global_offset_y
      - .offset:         88
        .size:           8
        .value_kind:     hidden_global_offset_z
      - .offset:         96
        .size:           2
        .value_kind:     hidden_grid_dims
    .group_segment_fixed_size: 0
    .kernarg_segment_align: 8
    .kernarg_segment_size: 288
    .language:       OpenCL C
    .language_version:
      - 2
      - 0
    .max_flat_workgroup_size: 256
    .name:           _Z6kernelI14exclusive_scanN15benchmark_utils11custom_typeIidEELj256ELj64ELj100EEvPKT0_PS4_S4_
    .private_segment_fixed_size: 0
    .sgpr_count:     24
    .sgpr_spill_count: 0
    .symbol:         _Z6kernelI14exclusive_scanN15benchmark_utils11custom_typeIidEELj256ELj64ELj100EEvPKT0_PS4_S4_.kd
    .uniform_work_group_size: 1
    .uses_dynamic_stack: false
    .vgpr_count:     10
    .vgpr_spill_count: 0
    .wavefront_size: 64
  - .args:
      - .address_space:  global
        .offset:         0
        .size:           8
        .value_kind:     global_buffer
      - .address_space:  global
        .offset:         8
        .size:           8
        .value_kind:     global_buffer
      - .offset:         16
        .size:           4
        .value_kind:     by_value
      - .offset:         24
        .size:           4
        .value_kind:     hidden_block_count_x
      - .offset:         28
        .size:           4
        .value_kind:     hidden_block_count_y
      - .offset:         32
        .size:           4
        .value_kind:     hidden_block_count_z
      - .offset:         36
        .size:           2
        .value_kind:     hidden_group_size_x
      - .offset:         38
        .size:           2
        .value_kind:     hidden_group_size_y
      - .offset:         40
        .size:           2
        .value_kind:     hidden_group_size_z
      - .offset:         42
        .size:           2
        .value_kind:     hidden_remainder_x
      - .offset:         44
        .size:           2
        .value_kind:     hidden_remainder_y
      - .offset:         46
        .size:           2
        .value_kind:     hidden_remainder_z
      - .offset:         64
        .size:           8
        .value_kind:     hidden_global_offset_x
      - .offset:         72
        .size:           8
        .value_kind:     hidden_global_offset_y
      - .offset:         80
        .size:           8
        .value_kind:     hidden_global_offset_z
      - .offset:         88
        .size:           2
        .value_kind:     hidden_grid_dims
    .group_segment_fixed_size: 60
    .kernarg_segment_align: 8
    .kernarg_segment_size: 280
    .language:       OpenCL C
    .language_version:
      - 2
      - 0
    .max_flat_workgroup_size: 60
    .name:           _Z6kernelI9broadcastiLj60ELj15ELj100EEvPKT0_PS1_S1_
    .private_segment_fixed_size: 0
    .sgpr_count:     12
    .sgpr_spill_count: 0
    .symbol:         _Z6kernelI9broadcastiLj60ELj15ELj100EEvPKT0_PS1_S1_.kd
    .uniform_work_group_size: 1
    .uses_dynamic_stack: false
    .vgpr_count:     6
    .vgpr_spill_count: 0
    .wavefront_size: 64
  - .args:
      - .address_space:  global
        .offset:         0
        .size:           8
        .value_kind:     global_buffer
      - .address_space:  global
        .offset:         8
        .size:           8
        .value_kind:     global_buffer
      - .offset:         16
        .size:           4
        .value_kind:     by_value
      - .offset:         24
        .size:           4
        .value_kind:     hidden_block_count_x
      - .offset:         28
        .size:           4
        .value_kind:     hidden_block_count_y
      - .offset:         32
        .size:           4
        .value_kind:     hidden_block_count_z
      - .offset:         36
        .size:           2
        .value_kind:     hidden_group_size_x
      - .offset:         38
        .size:           2
        .value_kind:     hidden_group_size_y
      - .offset:         40
        .size:           2
        .value_kind:     hidden_group_size_z
      - .offset:         42
        .size:           2
        .value_kind:     hidden_remainder_x
      - .offset:         44
        .size:           2
        .value_kind:     hidden_remainder_y
      - .offset:         46
        .size:           2
        .value_kind:     hidden_remainder_z
      - .offset:         64
        .size:           8
        .value_kind:     hidden_global_offset_x
      - .offset:         72
        .size:           8
        .value_kind:     hidden_global_offset_y
      - .offset:         80
        .size:           8
        .value_kind:     hidden_global_offset_z
      - .offset:         88
        .size:           2
        .value_kind:     hidden_grid_dims
    .group_segment_fixed_size: 0
    .kernarg_segment_align: 8
    .kernarg_segment_size: 280
    .language:       OpenCL C
    .language_version:
      - 2
      - 0
    .max_flat_workgroup_size: 256
    .name:           _Z6kernelI9broadcastiLj256ELj16ELj100EEvPKT0_PS1_S1_
    .private_segment_fixed_size: 0
    .sgpr_count:     12
    .sgpr_spill_count: 0
    .symbol:         _Z6kernelI9broadcastiLj256ELj16ELj100EEvPKT0_PS1_S1_.kd
    .uniform_work_group_size: 1
    .uses_dynamic_stack: false
    .vgpr_count:     4
    .vgpr_spill_count: 0
    .wavefront_size: 64
  - .args:
      - .address_space:  global
        .offset:         0
        .size:           8
        .value_kind:     global_buffer
      - .address_space:  global
        .offset:         8
        .size:           8
        .value_kind:     global_buffer
      - .offset:         16
        .size:           4
        .value_kind:     by_value
      - .offset:         24
        .size:           4
        .value_kind:     hidden_block_count_x
      - .offset:         28
        .size:           4
        .value_kind:     hidden_block_count_y
      - .offset:         32
        .size:           4
        .value_kind:     hidden_block_count_z
      - .offset:         36
        .size:           2
        .value_kind:     hidden_group_size_x
      - .offset:         38
        .size:           2
        .value_kind:     hidden_group_size_y
      - .offset:         40
        .size:           2
        .value_kind:     hidden_group_size_z
      - .offset:         42
        .size:           2
        .value_kind:     hidden_remainder_x
      - .offset:         44
        .size:           2
        .value_kind:     hidden_remainder_y
      - .offset:         46
        .size:           2
        .value_kind:     hidden_remainder_z
      - .offset:         64
        .size:           8
        .value_kind:     hidden_global_offset_x
      - .offset:         72
        .size:           8
        .value_kind:     hidden_global_offset_y
      - .offset:         80
        .size:           8
        .value_kind:     hidden_global_offset_z
      - .offset:         88
        .size:           2
        .value_kind:     hidden_grid_dims
    .group_segment_fixed_size: 124
    .kernarg_segment_align: 8
    .kernarg_segment_size: 280
    .language:       OpenCL C
    .language_version:
      - 2
      - 0
    .max_flat_workgroup_size: 62
    .name:           _Z6kernelI9broadcastiLj62ELj31ELj100EEvPKT0_PS1_S1_
    .private_segment_fixed_size: 0
    .sgpr_count:     12
    .sgpr_spill_count: 0
    .symbol:         _Z6kernelI9broadcastiLj62ELj31ELj100EEvPKT0_PS1_S1_.kd
    .uniform_work_group_size: 1
    .uses_dynamic_stack: false
    .vgpr_count:     6
    .vgpr_spill_count: 0
    .wavefront_size: 64
  - .args:
      - .address_space:  global
        .offset:         0
        .size:           8
        .value_kind:     global_buffer
      - .address_space:  global
        .offset:         8
        .size:           8
        .value_kind:     global_buffer
      - .offset:         16
        .size:           4
        .value_kind:     by_value
      - .offset:         24
        .size:           4
        .value_kind:     hidden_block_count_x
      - .offset:         28
        .size:           4
        .value_kind:     hidden_block_count_y
      - .offset:         32
        .size:           4
        .value_kind:     hidden_block_count_z
      - .offset:         36
        .size:           2
        .value_kind:     hidden_group_size_x
      - .offset:         38
        .size:           2
        .value_kind:     hidden_group_size_y
      - .offset:         40
        .size:           2
        .value_kind:     hidden_group_size_z
      - .offset:         42
        .size:           2
        .value_kind:     hidden_remainder_x
      - .offset:         44
        .size:           2
        .value_kind:     hidden_remainder_y
      - .offset:         46
        .size:           2
        .value_kind:     hidden_remainder_z
      - .offset:         64
        .size:           8
        .value_kind:     hidden_global_offset_x
      - .offset:         72
        .size:           8
        .value_kind:     hidden_global_offset_y
      - .offset:         80
        .size:           8
        .value_kind:     hidden_global_offset_z
      - .offset:         88
        .size:           2
        .value_kind:     hidden_grid_dims
    .group_segment_fixed_size: 0
    .kernarg_segment_align: 8
    .kernarg_segment_size: 280
    .language:       OpenCL C
    .language_version:
      - 2
      - 0
    .max_flat_workgroup_size: 256
    .name:           _Z6kernelI9broadcastiLj256ELj32ELj100EEvPKT0_PS1_S1_
    .private_segment_fixed_size: 0
    .sgpr_count:     12
    .sgpr_spill_count: 0
    .symbol:         _Z6kernelI9broadcastiLj256ELj32ELj100EEvPKT0_PS1_S1_.kd
    .uniform_work_group_size: 1
    .uses_dynamic_stack: false
    .vgpr_count:     4
    .vgpr_spill_count: 0
    .wavefront_size: 64
  - .args:
      - .address_space:  global
        .offset:         0
        .size:           8
        .value_kind:     global_buffer
      - .address_space:  global
        .offset:         8
        .size:           8
        .value_kind:     global_buffer
      - .offset:         16
        .size:           4
        .value_kind:     by_value
      - .offset:         24
        .size:           4
        .value_kind:     hidden_block_count_x
      - .offset:         28
        .size:           4
        .value_kind:     hidden_block_count_y
      - .offset:         32
        .size:           4
        .value_kind:     hidden_block_count_z
      - .offset:         36
        .size:           2
        .value_kind:     hidden_group_size_x
      - .offset:         38
        .size:           2
        .value_kind:     hidden_group_size_y
      - .offset:         40
        .size:           2
        .value_kind:     hidden_group_size_z
      - .offset:         42
        .size:           2
        .value_kind:     hidden_remainder_x
      - .offset:         44
        .size:           2
        .value_kind:     hidden_remainder_y
      - .offset:         46
        .size:           2
        .value_kind:     hidden_remainder_z
      - .offset:         64
        .size:           8
        .value_kind:     hidden_global_offset_x
      - .offset:         72
        .size:           8
        .value_kind:     hidden_global_offset_y
      - .offset:         80
        .size:           8
        .value_kind:     hidden_global_offset_z
      - .offset:         88
        .size:           2
        .value_kind:     hidden_grid_dims
    .group_segment_fixed_size: 252
    .kernarg_segment_align: 8
    .kernarg_segment_size: 280
    .language:       OpenCL C
    .language_version:
      - 2
      - 0
    .max_flat_workgroup_size: 63
    .name:           _Z6kernelI9broadcastiLj63ELj63ELj100EEvPKT0_PS1_S1_
    .private_segment_fixed_size: 0
    .sgpr_count:     12
    .sgpr_spill_count: 0
    .symbol:         _Z6kernelI9broadcastiLj63ELj63ELj100EEvPKT0_PS1_S1_.kd
    .uniform_work_group_size: 1
    .uses_dynamic_stack: false
    .vgpr_count:     6
    .vgpr_spill_count: 0
    .wavefront_size: 64
  - .args:
      - .address_space:  global
        .offset:         0
        .size:           8
        .value_kind:     global_buffer
      - .address_space:  global
        .offset:         8
        .size:           8
        .value_kind:     global_buffer
      - .offset:         16
        .size:           4
        .value_kind:     by_value
      - .offset:         24
        .size:           4
        .value_kind:     hidden_block_count_x
      - .offset:         28
        .size:           4
        .value_kind:     hidden_block_count_y
      - .offset:         32
        .size:           4
        .value_kind:     hidden_block_count_z
      - .offset:         36
        .size:           2
        .value_kind:     hidden_group_size_x
      - .offset:         38
        .size:           2
        .value_kind:     hidden_group_size_y
      - .offset:         40
        .size:           2
        .value_kind:     hidden_group_size_z
      - .offset:         42
        .size:           2
        .value_kind:     hidden_remainder_x
      - .offset:         44
        .size:           2
        .value_kind:     hidden_remainder_y
      - .offset:         46
        .size:           2
        .value_kind:     hidden_remainder_z
      - .offset:         64
        .size:           8
        .value_kind:     hidden_global_offset_x
      - .offset:         72
        .size:           8
        .value_kind:     hidden_global_offset_y
      - .offset:         80
        .size:           8
        .value_kind:     hidden_global_offset_z
      - .offset:         88
        .size:           2
        .value_kind:     hidden_grid_dims
    .group_segment_fixed_size: 0
    .kernarg_segment_align: 8
    .kernarg_segment_size: 280
    .language:       OpenCL C
    .language_version:
      - 2
      - 0
    .max_flat_workgroup_size: 64
    .name:           _Z6kernelI9broadcastiLj64ELj64ELj100EEvPKT0_PS1_S1_
    .private_segment_fixed_size: 0
    .sgpr_count:     12
    .sgpr_spill_count: 0
    .symbol:         _Z6kernelI9broadcastiLj64ELj64ELj100EEvPKT0_PS1_S1_.kd
    .uniform_work_group_size: 1
    .uses_dynamic_stack: false
    .vgpr_count:     4
    .vgpr_spill_count: 0
    .wavefront_size: 64
  - .args:
      - .address_space:  global
        .offset:         0
        .size:           8
        .value_kind:     global_buffer
      - .address_space:  global
        .offset:         8
        .size:           8
        .value_kind:     global_buffer
      - .offset:         16
        .size:           4
        .value_kind:     by_value
      - .offset:         24
        .size:           4
        .value_kind:     hidden_block_count_x
      - .offset:         28
        .size:           4
        .value_kind:     hidden_block_count_y
      - .offset:         32
        .size:           4
        .value_kind:     hidden_block_count_z
      - .offset:         36
        .size:           2
        .value_kind:     hidden_group_size_x
      - .offset:         38
        .size:           2
        .value_kind:     hidden_group_size_y
      - .offset:         40
        .size:           2
        .value_kind:     hidden_group_size_z
      - .offset:         42
        .size:           2
        .value_kind:     hidden_remainder_x
      - .offset:         44
        .size:           2
        .value_kind:     hidden_remainder_y
      - .offset:         46
        .size:           2
        .value_kind:     hidden_remainder_z
      - .offset:         64
        .size:           8
        .value_kind:     hidden_global_offset_x
      - .offset:         72
        .size:           8
        .value_kind:     hidden_global_offset_y
      - .offset:         80
        .size:           8
        .value_kind:     hidden_global_offset_z
      - .offset:         88
        .size:           2
        .value_kind:     hidden_grid_dims
    .group_segment_fixed_size: 0
    .kernarg_segment_align: 8
    .kernarg_segment_size: 280
    .language:       OpenCL C
    .language_version:
      - 2
      - 0
    .max_flat_workgroup_size: 128
    .name:           _Z6kernelI9broadcastiLj128ELj64ELj100EEvPKT0_PS1_S1_
    .private_segment_fixed_size: 0
    .sgpr_count:     12
    .sgpr_spill_count: 0
    .symbol:         _Z6kernelI9broadcastiLj128ELj64ELj100EEvPKT0_PS1_S1_.kd
    .uniform_work_group_size: 1
    .uses_dynamic_stack: false
    .vgpr_count:     4
    .vgpr_spill_count: 0
    .wavefront_size: 64
  - .args:
      - .address_space:  global
        .offset:         0
        .size:           8
        .value_kind:     global_buffer
      - .address_space:  global
        .offset:         8
        .size:           8
        .value_kind:     global_buffer
      - .offset:         16
        .size:           4
        .value_kind:     by_value
      - .offset:         24
        .size:           4
        .value_kind:     hidden_block_count_x
      - .offset:         28
        .size:           4
        .value_kind:     hidden_block_count_y
      - .offset:         32
        .size:           4
        .value_kind:     hidden_block_count_z
      - .offset:         36
        .size:           2
        .value_kind:     hidden_group_size_x
      - .offset:         38
        .size:           2
        .value_kind:     hidden_group_size_y
      - .offset:         40
        .size:           2
        .value_kind:     hidden_group_size_z
      - .offset:         42
        .size:           2
        .value_kind:     hidden_remainder_x
      - .offset:         44
        .size:           2
        .value_kind:     hidden_remainder_y
      - .offset:         46
        .size:           2
        .value_kind:     hidden_remainder_z
      - .offset:         64
        .size:           8
        .value_kind:     hidden_global_offset_x
      - .offset:         72
        .size:           8
        .value_kind:     hidden_global_offset_y
      - .offset:         80
        .size:           8
        .value_kind:     hidden_global_offset_z
      - .offset:         88
        .size:           2
        .value_kind:     hidden_grid_dims
    .group_segment_fixed_size: 0
    .kernarg_segment_align: 8
    .kernarg_segment_size: 280
    .language:       OpenCL C
    .language_version:
      - 2
      - 0
    .max_flat_workgroup_size: 256
    .name:           _Z6kernelI9broadcastiLj256ELj64ELj100EEvPKT0_PS1_S1_
    .private_segment_fixed_size: 0
    .sgpr_count:     12
    .sgpr_spill_count: 0
    .symbol:         _Z6kernelI9broadcastiLj256ELj64ELj100EEvPKT0_PS1_S1_.kd
    .uniform_work_group_size: 1
    .uses_dynamic_stack: false
    .vgpr_count:     4
    .vgpr_spill_count: 0
    .wavefront_size: 64
  - .args:
      - .address_space:  global
        .offset:         0
        .size:           8
        .value_kind:     global_buffer
      - .address_space:  global
        .offset:         8
        .size:           8
        .value_kind:     global_buffer
      - .offset:         16
        .size:           4
        .value_kind:     by_value
      - .offset:         24
        .size:           4
        .value_kind:     hidden_block_count_x
      - .offset:         28
        .size:           4
        .value_kind:     hidden_block_count_y
      - .offset:         32
        .size:           4
        .value_kind:     hidden_block_count_z
      - .offset:         36
        .size:           2
        .value_kind:     hidden_group_size_x
      - .offset:         38
        .size:           2
        .value_kind:     hidden_group_size_y
      - .offset:         40
        .size:           2
        .value_kind:     hidden_group_size_z
      - .offset:         42
        .size:           2
        .value_kind:     hidden_remainder_x
      - .offset:         44
        .size:           2
        .value_kind:     hidden_remainder_y
      - .offset:         46
        .size:           2
        .value_kind:     hidden_remainder_z
      - .offset:         64
        .size:           8
        .value_kind:     hidden_global_offset_x
      - .offset:         72
        .size:           8
        .value_kind:     hidden_global_offset_y
      - .offset:         80
        .size:           8
        .value_kind:     hidden_global_offset_z
      - .offset:         88
        .size:           2
        .value_kind:     hidden_grid_dims
    .group_segment_fixed_size: 60
    .kernarg_segment_align: 8
    .kernarg_segment_size: 280
    .language:       OpenCL C
    .language_version:
      - 2
      - 0
    .max_flat_workgroup_size: 60
    .name:           _Z6kernelI9broadcastfLj60ELj15ELj100EEvPKT0_PS1_S1_
    .private_segment_fixed_size: 0
    .sgpr_count:     12
    .sgpr_spill_count: 0
    .symbol:         _Z6kernelI9broadcastfLj60ELj15ELj100EEvPKT0_PS1_S1_.kd
    .uniform_work_group_size: 1
    .uses_dynamic_stack: false
    .vgpr_count:     6
    .vgpr_spill_count: 0
    .wavefront_size: 64
  - .args:
      - .address_space:  global
        .offset:         0
        .size:           8
        .value_kind:     global_buffer
      - .address_space:  global
        .offset:         8
        .size:           8
        .value_kind:     global_buffer
      - .offset:         16
        .size:           4
        .value_kind:     by_value
      - .offset:         24
        .size:           4
        .value_kind:     hidden_block_count_x
      - .offset:         28
        .size:           4
        .value_kind:     hidden_block_count_y
      - .offset:         32
        .size:           4
        .value_kind:     hidden_block_count_z
      - .offset:         36
        .size:           2
        .value_kind:     hidden_group_size_x
      - .offset:         38
        .size:           2
        .value_kind:     hidden_group_size_y
      - .offset:         40
        .size:           2
        .value_kind:     hidden_group_size_z
      - .offset:         42
        .size:           2
        .value_kind:     hidden_remainder_x
      - .offset:         44
        .size:           2
        .value_kind:     hidden_remainder_y
      - .offset:         46
        .size:           2
        .value_kind:     hidden_remainder_z
      - .offset:         64
        .size:           8
        .value_kind:     hidden_global_offset_x
      - .offset:         72
        .size:           8
        .value_kind:     hidden_global_offset_y
      - .offset:         80
        .size:           8
        .value_kind:     hidden_global_offset_z
      - .offset:         88
        .size:           2
        .value_kind:     hidden_grid_dims
    .group_segment_fixed_size: 0
    .kernarg_segment_align: 8
    .kernarg_segment_size: 280
    .language:       OpenCL C
    .language_version:
      - 2
      - 0
    .max_flat_workgroup_size: 256
    .name:           _Z6kernelI9broadcastfLj256ELj16ELj100EEvPKT0_PS1_S1_
    .private_segment_fixed_size: 0
    .sgpr_count:     12
    .sgpr_spill_count: 0
    .symbol:         _Z6kernelI9broadcastfLj256ELj16ELj100EEvPKT0_PS1_S1_.kd
    .uniform_work_group_size: 1
    .uses_dynamic_stack: false
    .vgpr_count:     4
    .vgpr_spill_count: 0
    .wavefront_size: 64
  - .args:
      - .address_space:  global
        .offset:         0
        .size:           8
        .value_kind:     global_buffer
      - .address_space:  global
        .offset:         8
        .size:           8
        .value_kind:     global_buffer
      - .offset:         16
        .size:           4
        .value_kind:     by_value
      - .offset:         24
        .size:           4
        .value_kind:     hidden_block_count_x
      - .offset:         28
        .size:           4
        .value_kind:     hidden_block_count_y
      - .offset:         32
        .size:           4
        .value_kind:     hidden_block_count_z
      - .offset:         36
        .size:           2
        .value_kind:     hidden_group_size_x
      - .offset:         38
        .size:           2
        .value_kind:     hidden_group_size_y
      - .offset:         40
        .size:           2
        .value_kind:     hidden_group_size_z
      - .offset:         42
        .size:           2
        .value_kind:     hidden_remainder_x
      - .offset:         44
        .size:           2
        .value_kind:     hidden_remainder_y
      - .offset:         46
        .size:           2
        .value_kind:     hidden_remainder_z
      - .offset:         64
        .size:           8
        .value_kind:     hidden_global_offset_x
      - .offset:         72
        .size:           8
        .value_kind:     hidden_global_offset_y
      - .offset:         80
        .size:           8
        .value_kind:     hidden_global_offset_z
      - .offset:         88
        .size:           2
        .value_kind:     hidden_grid_dims
    .group_segment_fixed_size: 124
    .kernarg_segment_align: 8
    .kernarg_segment_size: 280
    .language:       OpenCL C
    .language_version:
      - 2
      - 0
    .max_flat_workgroup_size: 62
    .name:           _Z6kernelI9broadcastfLj62ELj31ELj100EEvPKT0_PS1_S1_
    .private_segment_fixed_size: 0
    .sgpr_count:     12
    .sgpr_spill_count: 0
    .symbol:         _Z6kernelI9broadcastfLj62ELj31ELj100EEvPKT0_PS1_S1_.kd
    .uniform_work_group_size: 1
    .uses_dynamic_stack: false
    .vgpr_count:     6
    .vgpr_spill_count: 0
    .wavefront_size: 64
  - .args:
      - .address_space:  global
        .offset:         0
        .size:           8
        .value_kind:     global_buffer
      - .address_space:  global
        .offset:         8
        .size:           8
        .value_kind:     global_buffer
      - .offset:         16
        .size:           4
        .value_kind:     by_value
      - .offset:         24
        .size:           4
        .value_kind:     hidden_block_count_x
      - .offset:         28
        .size:           4
        .value_kind:     hidden_block_count_y
      - .offset:         32
        .size:           4
        .value_kind:     hidden_block_count_z
      - .offset:         36
        .size:           2
        .value_kind:     hidden_group_size_x
      - .offset:         38
        .size:           2
        .value_kind:     hidden_group_size_y
      - .offset:         40
        .size:           2
        .value_kind:     hidden_group_size_z
      - .offset:         42
        .size:           2
        .value_kind:     hidden_remainder_x
      - .offset:         44
        .size:           2
        .value_kind:     hidden_remainder_y
      - .offset:         46
        .size:           2
        .value_kind:     hidden_remainder_z
      - .offset:         64
        .size:           8
        .value_kind:     hidden_global_offset_x
      - .offset:         72
        .size:           8
        .value_kind:     hidden_global_offset_y
      - .offset:         80
        .size:           8
        .value_kind:     hidden_global_offset_z
      - .offset:         88
        .size:           2
        .value_kind:     hidden_grid_dims
    .group_segment_fixed_size: 0
    .kernarg_segment_align: 8
    .kernarg_segment_size: 280
    .language:       OpenCL C
    .language_version:
      - 2
      - 0
    .max_flat_workgroup_size: 256
    .name:           _Z6kernelI9broadcastfLj256ELj32ELj100EEvPKT0_PS1_S1_
    .private_segment_fixed_size: 0
    .sgpr_count:     12
    .sgpr_spill_count: 0
    .symbol:         _Z6kernelI9broadcastfLj256ELj32ELj100EEvPKT0_PS1_S1_.kd
    .uniform_work_group_size: 1
    .uses_dynamic_stack: false
    .vgpr_count:     4
    .vgpr_spill_count: 0
    .wavefront_size: 64
  - .args:
      - .address_space:  global
        .offset:         0
        .size:           8
        .value_kind:     global_buffer
      - .address_space:  global
        .offset:         8
        .size:           8
        .value_kind:     global_buffer
      - .offset:         16
        .size:           4
        .value_kind:     by_value
      - .offset:         24
        .size:           4
        .value_kind:     hidden_block_count_x
      - .offset:         28
        .size:           4
        .value_kind:     hidden_block_count_y
      - .offset:         32
        .size:           4
        .value_kind:     hidden_block_count_z
      - .offset:         36
        .size:           2
        .value_kind:     hidden_group_size_x
      - .offset:         38
        .size:           2
        .value_kind:     hidden_group_size_y
      - .offset:         40
        .size:           2
        .value_kind:     hidden_group_size_z
      - .offset:         42
        .size:           2
        .value_kind:     hidden_remainder_x
      - .offset:         44
        .size:           2
        .value_kind:     hidden_remainder_y
      - .offset:         46
        .size:           2
        .value_kind:     hidden_remainder_z
      - .offset:         64
        .size:           8
        .value_kind:     hidden_global_offset_x
      - .offset:         72
        .size:           8
        .value_kind:     hidden_global_offset_y
      - .offset:         80
        .size:           8
        .value_kind:     hidden_global_offset_z
      - .offset:         88
        .size:           2
        .value_kind:     hidden_grid_dims
    .group_segment_fixed_size: 252
    .kernarg_segment_align: 8
    .kernarg_segment_size: 280
    .language:       OpenCL C
    .language_version:
      - 2
      - 0
    .max_flat_workgroup_size: 63
    .name:           _Z6kernelI9broadcastfLj63ELj63ELj100EEvPKT0_PS1_S1_
    .private_segment_fixed_size: 0
    .sgpr_count:     12
    .sgpr_spill_count: 0
    .symbol:         _Z6kernelI9broadcastfLj63ELj63ELj100EEvPKT0_PS1_S1_.kd
    .uniform_work_group_size: 1
    .uses_dynamic_stack: false
    .vgpr_count:     6
    .vgpr_spill_count: 0
    .wavefront_size: 64
  - .args:
      - .address_space:  global
        .offset:         0
        .size:           8
        .value_kind:     global_buffer
      - .address_space:  global
        .offset:         8
        .size:           8
        .value_kind:     global_buffer
      - .offset:         16
        .size:           4
        .value_kind:     by_value
      - .offset:         24
        .size:           4
        .value_kind:     hidden_block_count_x
      - .offset:         28
        .size:           4
        .value_kind:     hidden_block_count_y
      - .offset:         32
        .size:           4
        .value_kind:     hidden_block_count_z
      - .offset:         36
        .size:           2
        .value_kind:     hidden_group_size_x
      - .offset:         38
        .size:           2
        .value_kind:     hidden_group_size_y
      - .offset:         40
        .size:           2
        .value_kind:     hidden_group_size_z
      - .offset:         42
        .size:           2
        .value_kind:     hidden_remainder_x
      - .offset:         44
        .size:           2
        .value_kind:     hidden_remainder_y
      - .offset:         46
        .size:           2
        .value_kind:     hidden_remainder_z
      - .offset:         64
        .size:           8
        .value_kind:     hidden_global_offset_x
      - .offset:         72
        .size:           8
        .value_kind:     hidden_global_offset_y
      - .offset:         80
        .size:           8
        .value_kind:     hidden_global_offset_z
      - .offset:         88
        .size:           2
        .value_kind:     hidden_grid_dims
    .group_segment_fixed_size: 0
    .kernarg_segment_align: 8
    .kernarg_segment_size: 280
    .language:       OpenCL C
    .language_version:
      - 2
      - 0
    .max_flat_workgroup_size: 64
    .name:           _Z6kernelI9broadcastfLj64ELj64ELj100EEvPKT0_PS1_S1_
    .private_segment_fixed_size: 0
    .sgpr_count:     12
    .sgpr_spill_count: 0
    .symbol:         _Z6kernelI9broadcastfLj64ELj64ELj100EEvPKT0_PS1_S1_.kd
    .uniform_work_group_size: 1
    .uses_dynamic_stack: false
    .vgpr_count:     4
    .vgpr_spill_count: 0
    .wavefront_size: 64
  - .args:
      - .address_space:  global
        .offset:         0
        .size:           8
        .value_kind:     global_buffer
      - .address_space:  global
        .offset:         8
        .size:           8
        .value_kind:     global_buffer
      - .offset:         16
        .size:           4
        .value_kind:     by_value
      - .offset:         24
        .size:           4
        .value_kind:     hidden_block_count_x
      - .offset:         28
        .size:           4
        .value_kind:     hidden_block_count_y
      - .offset:         32
        .size:           4
        .value_kind:     hidden_block_count_z
      - .offset:         36
        .size:           2
        .value_kind:     hidden_group_size_x
      - .offset:         38
        .size:           2
        .value_kind:     hidden_group_size_y
      - .offset:         40
        .size:           2
        .value_kind:     hidden_group_size_z
      - .offset:         42
        .size:           2
        .value_kind:     hidden_remainder_x
      - .offset:         44
        .size:           2
        .value_kind:     hidden_remainder_y
      - .offset:         46
        .size:           2
        .value_kind:     hidden_remainder_z
      - .offset:         64
        .size:           8
        .value_kind:     hidden_global_offset_x
      - .offset:         72
        .size:           8
        .value_kind:     hidden_global_offset_y
      - .offset:         80
        .size:           8
        .value_kind:     hidden_global_offset_z
      - .offset:         88
        .size:           2
        .value_kind:     hidden_grid_dims
    .group_segment_fixed_size: 0
    .kernarg_segment_align: 8
    .kernarg_segment_size: 280
    .language:       OpenCL C
    .language_version:
      - 2
      - 0
    .max_flat_workgroup_size: 128
    .name:           _Z6kernelI9broadcastfLj128ELj64ELj100EEvPKT0_PS1_S1_
    .private_segment_fixed_size: 0
    .sgpr_count:     12
    .sgpr_spill_count: 0
    .symbol:         _Z6kernelI9broadcastfLj128ELj64ELj100EEvPKT0_PS1_S1_.kd
    .uniform_work_group_size: 1
    .uses_dynamic_stack: false
    .vgpr_count:     4
    .vgpr_spill_count: 0
    .wavefront_size: 64
  - .args:
      - .address_space:  global
        .offset:         0
        .size:           8
        .value_kind:     global_buffer
      - .address_space:  global
        .offset:         8
        .size:           8
        .value_kind:     global_buffer
      - .offset:         16
        .size:           4
        .value_kind:     by_value
      - .offset:         24
        .size:           4
        .value_kind:     hidden_block_count_x
      - .offset:         28
        .size:           4
        .value_kind:     hidden_block_count_y
      - .offset:         32
        .size:           4
        .value_kind:     hidden_block_count_z
      - .offset:         36
        .size:           2
        .value_kind:     hidden_group_size_x
      - .offset:         38
        .size:           2
        .value_kind:     hidden_group_size_y
      - .offset:         40
        .size:           2
        .value_kind:     hidden_group_size_z
      - .offset:         42
        .size:           2
        .value_kind:     hidden_remainder_x
      - .offset:         44
        .size:           2
        .value_kind:     hidden_remainder_y
      - .offset:         46
        .size:           2
        .value_kind:     hidden_remainder_z
      - .offset:         64
        .size:           8
        .value_kind:     hidden_global_offset_x
      - .offset:         72
        .size:           8
        .value_kind:     hidden_global_offset_y
      - .offset:         80
        .size:           8
        .value_kind:     hidden_global_offset_z
      - .offset:         88
        .size:           2
        .value_kind:     hidden_grid_dims
    .group_segment_fixed_size: 0
    .kernarg_segment_align: 8
    .kernarg_segment_size: 280
    .language:       OpenCL C
    .language_version:
      - 2
      - 0
    .max_flat_workgroup_size: 256
    .name:           _Z6kernelI9broadcastfLj256ELj64ELj100EEvPKT0_PS1_S1_
    .private_segment_fixed_size: 0
    .sgpr_count:     12
    .sgpr_spill_count: 0
    .symbol:         _Z6kernelI9broadcastfLj256ELj64ELj100EEvPKT0_PS1_S1_.kd
    .uniform_work_group_size: 1
    .uses_dynamic_stack: false
    .vgpr_count:     4
    .vgpr_spill_count: 0
    .wavefront_size: 64
  - .args:
      - .address_space:  global
        .offset:         0
        .size:           8
        .value_kind:     global_buffer
      - .address_space:  global
        .offset:         8
        .size:           8
        .value_kind:     global_buffer
      - .offset:         16
        .size:           8
        .value_kind:     by_value
      - .offset:         24
        .size:           4
        .value_kind:     hidden_block_count_x
      - .offset:         28
        .size:           4
        .value_kind:     hidden_block_count_y
      - .offset:         32
        .size:           4
        .value_kind:     hidden_block_count_z
      - .offset:         36
        .size:           2
        .value_kind:     hidden_group_size_x
      - .offset:         38
        .size:           2
        .value_kind:     hidden_group_size_y
      - .offset:         40
        .size:           2
        .value_kind:     hidden_group_size_z
      - .offset:         42
        .size:           2
        .value_kind:     hidden_remainder_x
      - .offset:         44
        .size:           2
        .value_kind:     hidden_remainder_y
      - .offset:         46
        .size:           2
        .value_kind:     hidden_remainder_z
      - .offset:         64
        .size:           8
        .value_kind:     hidden_global_offset_x
      - .offset:         72
        .size:           8
        .value_kind:     hidden_global_offset_y
      - .offset:         80
        .size:           8
        .value_kind:     hidden_global_offset_z
      - .offset:         88
        .size:           2
        .value_kind:     hidden_grid_dims
    .group_segment_fixed_size: 120
    .kernarg_segment_align: 8
    .kernarg_segment_size: 280
    .language:       OpenCL C
    .language_version:
      - 2
      - 0
    .max_flat_workgroup_size: 60
    .name:           _Z6kernelI9broadcastdLj60ELj15ELj100EEvPKT0_PS1_S1_
    .private_segment_fixed_size: 0
    .sgpr_count:     12
    .sgpr_spill_count: 0
    .symbol:         _Z6kernelI9broadcastdLj60ELj15ELj100EEvPKT0_PS1_S1_.kd
    .uniform_work_group_size: 1
    .uses_dynamic_stack: false
    .vgpr_count:     6
    .vgpr_spill_count: 0
    .wavefront_size: 64
  - .args:
      - .address_space:  global
        .offset:         0
        .size:           8
        .value_kind:     global_buffer
      - .address_space:  global
        .offset:         8
        .size:           8
        .value_kind:     global_buffer
      - .offset:         16
        .size:           8
        .value_kind:     by_value
      - .offset:         24
        .size:           4
        .value_kind:     hidden_block_count_x
      - .offset:         28
        .size:           4
        .value_kind:     hidden_block_count_y
      - .offset:         32
        .size:           4
        .value_kind:     hidden_block_count_z
      - .offset:         36
        .size:           2
        .value_kind:     hidden_group_size_x
      - .offset:         38
        .size:           2
        .value_kind:     hidden_group_size_y
      - .offset:         40
        .size:           2
        .value_kind:     hidden_group_size_z
      - .offset:         42
        .size:           2
        .value_kind:     hidden_remainder_x
      - .offset:         44
        .size:           2
        .value_kind:     hidden_remainder_y
      - .offset:         46
        .size:           2
        .value_kind:     hidden_remainder_z
      - .offset:         64
        .size:           8
        .value_kind:     hidden_global_offset_x
      - .offset:         72
        .size:           8
        .value_kind:     hidden_global_offset_y
      - .offset:         80
        .size:           8
        .value_kind:     hidden_global_offset_z
      - .offset:         88
        .size:           2
        .value_kind:     hidden_grid_dims
    .group_segment_fixed_size: 0
    .kernarg_segment_align: 8
    .kernarg_segment_size: 280
    .language:       OpenCL C
    .language_version:
      - 2
      - 0
    .max_flat_workgroup_size: 256
    .name:           _Z6kernelI9broadcastdLj256ELj16ELj100EEvPKT0_PS1_S1_
    .private_segment_fixed_size: 0
    .sgpr_count:     12
    .sgpr_spill_count: 0
    .symbol:         _Z6kernelI9broadcastdLj256ELj16ELj100EEvPKT0_PS1_S1_.kd
    .uniform_work_group_size: 1
    .uses_dynamic_stack: false
    .vgpr_count:     5
    .vgpr_spill_count: 0
    .wavefront_size: 64
  - .args:
      - .address_space:  global
        .offset:         0
        .size:           8
        .value_kind:     global_buffer
      - .address_space:  global
        .offset:         8
        .size:           8
        .value_kind:     global_buffer
      - .offset:         16
        .size:           8
        .value_kind:     by_value
      - .offset:         24
        .size:           4
        .value_kind:     hidden_block_count_x
      - .offset:         28
        .size:           4
        .value_kind:     hidden_block_count_y
      - .offset:         32
        .size:           4
        .value_kind:     hidden_block_count_z
      - .offset:         36
        .size:           2
        .value_kind:     hidden_group_size_x
      - .offset:         38
        .size:           2
        .value_kind:     hidden_group_size_y
      - .offset:         40
        .size:           2
        .value_kind:     hidden_group_size_z
      - .offset:         42
        .size:           2
        .value_kind:     hidden_remainder_x
      - .offset:         44
        .size:           2
        .value_kind:     hidden_remainder_y
      - .offset:         46
        .size:           2
        .value_kind:     hidden_remainder_z
      - .offset:         64
        .size:           8
        .value_kind:     hidden_global_offset_x
      - .offset:         72
        .size:           8
        .value_kind:     hidden_global_offset_y
      - .offset:         80
        .size:           8
        .value_kind:     hidden_global_offset_z
      - .offset:         88
        .size:           2
        .value_kind:     hidden_grid_dims
    .group_segment_fixed_size: 248
    .kernarg_segment_align: 8
    .kernarg_segment_size: 280
    .language:       OpenCL C
    .language_version:
      - 2
      - 0
    .max_flat_workgroup_size: 62
    .name:           _Z6kernelI9broadcastdLj62ELj31ELj100EEvPKT0_PS1_S1_
    .private_segment_fixed_size: 0
    .sgpr_count:     12
    .sgpr_spill_count: 0
    .symbol:         _Z6kernelI9broadcastdLj62ELj31ELj100EEvPKT0_PS1_S1_.kd
    .uniform_work_group_size: 1
    .uses_dynamic_stack: false
    .vgpr_count:     6
    .vgpr_spill_count: 0
    .wavefront_size: 64
  - .args:
      - .address_space:  global
        .offset:         0
        .size:           8
        .value_kind:     global_buffer
      - .address_space:  global
        .offset:         8
        .size:           8
        .value_kind:     global_buffer
      - .offset:         16
        .size:           8
        .value_kind:     by_value
      - .offset:         24
        .size:           4
        .value_kind:     hidden_block_count_x
      - .offset:         28
        .size:           4
        .value_kind:     hidden_block_count_y
      - .offset:         32
        .size:           4
        .value_kind:     hidden_block_count_z
      - .offset:         36
        .size:           2
        .value_kind:     hidden_group_size_x
      - .offset:         38
        .size:           2
        .value_kind:     hidden_group_size_y
      - .offset:         40
        .size:           2
        .value_kind:     hidden_group_size_z
      - .offset:         42
        .size:           2
        .value_kind:     hidden_remainder_x
      - .offset:         44
        .size:           2
        .value_kind:     hidden_remainder_y
      - .offset:         46
        .size:           2
        .value_kind:     hidden_remainder_z
      - .offset:         64
        .size:           8
        .value_kind:     hidden_global_offset_x
      - .offset:         72
        .size:           8
        .value_kind:     hidden_global_offset_y
      - .offset:         80
        .size:           8
        .value_kind:     hidden_global_offset_z
      - .offset:         88
        .size:           2
        .value_kind:     hidden_grid_dims
    .group_segment_fixed_size: 0
    .kernarg_segment_align: 8
    .kernarg_segment_size: 280
    .language:       OpenCL C
    .language_version:
      - 2
      - 0
    .max_flat_workgroup_size: 256
    .name:           _Z6kernelI9broadcastdLj256ELj32ELj100EEvPKT0_PS1_S1_
    .private_segment_fixed_size: 0
    .sgpr_count:     12
    .sgpr_spill_count: 0
    .symbol:         _Z6kernelI9broadcastdLj256ELj32ELj100EEvPKT0_PS1_S1_.kd
    .uniform_work_group_size: 1
    .uses_dynamic_stack: false
    .vgpr_count:     5
    .vgpr_spill_count: 0
    .wavefront_size: 64
  - .args:
      - .address_space:  global
        .offset:         0
        .size:           8
        .value_kind:     global_buffer
      - .address_space:  global
        .offset:         8
        .size:           8
        .value_kind:     global_buffer
      - .offset:         16
        .size:           8
        .value_kind:     by_value
      - .offset:         24
        .size:           4
        .value_kind:     hidden_block_count_x
      - .offset:         28
        .size:           4
        .value_kind:     hidden_block_count_y
      - .offset:         32
        .size:           4
        .value_kind:     hidden_block_count_z
      - .offset:         36
        .size:           2
        .value_kind:     hidden_group_size_x
      - .offset:         38
        .size:           2
        .value_kind:     hidden_group_size_y
      - .offset:         40
        .size:           2
        .value_kind:     hidden_group_size_z
      - .offset:         42
        .size:           2
        .value_kind:     hidden_remainder_x
      - .offset:         44
        .size:           2
        .value_kind:     hidden_remainder_y
      - .offset:         46
        .size:           2
        .value_kind:     hidden_remainder_z
      - .offset:         64
        .size:           8
        .value_kind:     hidden_global_offset_x
      - .offset:         72
        .size:           8
        .value_kind:     hidden_global_offset_y
      - .offset:         80
        .size:           8
        .value_kind:     hidden_global_offset_z
      - .offset:         88
        .size:           2
        .value_kind:     hidden_grid_dims
    .group_segment_fixed_size: 504
    .kernarg_segment_align: 8
    .kernarg_segment_size: 280
    .language:       OpenCL C
    .language_version:
      - 2
      - 0
    .max_flat_workgroup_size: 63
    .name:           _Z6kernelI9broadcastdLj63ELj63ELj100EEvPKT0_PS1_S1_
    .private_segment_fixed_size: 0
    .sgpr_count:     12
    .sgpr_spill_count: 0
    .symbol:         _Z6kernelI9broadcastdLj63ELj63ELj100EEvPKT0_PS1_S1_.kd
    .uniform_work_group_size: 1
    .uses_dynamic_stack: false
    .vgpr_count:     6
    .vgpr_spill_count: 0
    .wavefront_size: 64
  - .args:
      - .address_space:  global
        .offset:         0
        .size:           8
        .value_kind:     global_buffer
      - .address_space:  global
        .offset:         8
        .size:           8
        .value_kind:     global_buffer
      - .offset:         16
        .size:           8
        .value_kind:     by_value
      - .offset:         24
        .size:           4
        .value_kind:     hidden_block_count_x
      - .offset:         28
        .size:           4
        .value_kind:     hidden_block_count_y
      - .offset:         32
        .size:           4
        .value_kind:     hidden_block_count_z
      - .offset:         36
        .size:           2
        .value_kind:     hidden_group_size_x
      - .offset:         38
        .size:           2
        .value_kind:     hidden_group_size_y
      - .offset:         40
        .size:           2
        .value_kind:     hidden_group_size_z
      - .offset:         42
        .size:           2
        .value_kind:     hidden_remainder_x
      - .offset:         44
        .size:           2
        .value_kind:     hidden_remainder_y
      - .offset:         46
        .size:           2
        .value_kind:     hidden_remainder_z
      - .offset:         64
        .size:           8
        .value_kind:     hidden_global_offset_x
      - .offset:         72
        .size:           8
        .value_kind:     hidden_global_offset_y
      - .offset:         80
        .size:           8
        .value_kind:     hidden_global_offset_z
      - .offset:         88
        .size:           2
        .value_kind:     hidden_grid_dims
    .group_segment_fixed_size: 0
    .kernarg_segment_align: 8
    .kernarg_segment_size: 280
    .language:       OpenCL C
    .language_version:
      - 2
      - 0
    .max_flat_workgroup_size: 64
    .name:           _Z6kernelI9broadcastdLj64ELj64ELj100EEvPKT0_PS1_S1_
    .private_segment_fixed_size: 0
    .sgpr_count:     12
    .sgpr_spill_count: 0
    .symbol:         _Z6kernelI9broadcastdLj64ELj64ELj100EEvPKT0_PS1_S1_.kd
    .uniform_work_group_size: 1
    .uses_dynamic_stack: false
    .vgpr_count:     5
    .vgpr_spill_count: 0
    .wavefront_size: 64
  - .args:
      - .address_space:  global
        .offset:         0
        .size:           8
        .value_kind:     global_buffer
      - .address_space:  global
        .offset:         8
        .size:           8
        .value_kind:     global_buffer
      - .offset:         16
        .size:           8
        .value_kind:     by_value
      - .offset:         24
        .size:           4
        .value_kind:     hidden_block_count_x
      - .offset:         28
        .size:           4
        .value_kind:     hidden_block_count_y
      - .offset:         32
        .size:           4
        .value_kind:     hidden_block_count_z
      - .offset:         36
        .size:           2
        .value_kind:     hidden_group_size_x
      - .offset:         38
        .size:           2
        .value_kind:     hidden_group_size_y
      - .offset:         40
        .size:           2
        .value_kind:     hidden_group_size_z
      - .offset:         42
        .size:           2
        .value_kind:     hidden_remainder_x
      - .offset:         44
        .size:           2
        .value_kind:     hidden_remainder_y
      - .offset:         46
        .size:           2
        .value_kind:     hidden_remainder_z
      - .offset:         64
        .size:           8
        .value_kind:     hidden_global_offset_x
      - .offset:         72
        .size:           8
        .value_kind:     hidden_global_offset_y
      - .offset:         80
        .size:           8
        .value_kind:     hidden_global_offset_z
      - .offset:         88
        .size:           2
        .value_kind:     hidden_grid_dims
    .group_segment_fixed_size: 0
    .kernarg_segment_align: 8
    .kernarg_segment_size: 280
    .language:       OpenCL C
    .language_version:
      - 2
      - 0
    .max_flat_workgroup_size: 128
    .name:           _Z6kernelI9broadcastdLj128ELj64ELj100EEvPKT0_PS1_S1_
    .private_segment_fixed_size: 0
    .sgpr_count:     12
    .sgpr_spill_count: 0
    .symbol:         _Z6kernelI9broadcastdLj128ELj64ELj100EEvPKT0_PS1_S1_.kd
    .uniform_work_group_size: 1
    .uses_dynamic_stack: false
    .vgpr_count:     5
    .vgpr_spill_count: 0
    .wavefront_size: 64
  - .args:
      - .address_space:  global
        .offset:         0
        .size:           8
        .value_kind:     global_buffer
      - .address_space:  global
        .offset:         8
        .size:           8
        .value_kind:     global_buffer
      - .offset:         16
        .size:           8
        .value_kind:     by_value
      - .offset:         24
        .size:           4
        .value_kind:     hidden_block_count_x
      - .offset:         28
        .size:           4
        .value_kind:     hidden_block_count_y
      - .offset:         32
        .size:           4
        .value_kind:     hidden_block_count_z
      - .offset:         36
        .size:           2
        .value_kind:     hidden_group_size_x
      - .offset:         38
        .size:           2
        .value_kind:     hidden_group_size_y
      - .offset:         40
        .size:           2
        .value_kind:     hidden_group_size_z
      - .offset:         42
        .size:           2
        .value_kind:     hidden_remainder_x
      - .offset:         44
        .size:           2
        .value_kind:     hidden_remainder_y
      - .offset:         46
        .size:           2
        .value_kind:     hidden_remainder_z
      - .offset:         64
        .size:           8
        .value_kind:     hidden_global_offset_x
      - .offset:         72
        .size:           8
        .value_kind:     hidden_global_offset_y
      - .offset:         80
        .size:           8
        .value_kind:     hidden_global_offset_z
      - .offset:         88
        .size:           2
        .value_kind:     hidden_grid_dims
    .group_segment_fixed_size: 0
    .kernarg_segment_align: 8
    .kernarg_segment_size: 280
    .language:       OpenCL C
    .language_version:
      - 2
      - 0
    .max_flat_workgroup_size: 256
    .name:           _Z6kernelI9broadcastdLj256ELj64ELj100EEvPKT0_PS1_S1_
    .private_segment_fixed_size: 0
    .sgpr_count:     12
    .sgpr_spill_count: 0
    .symbol:         _Z6kernelI9broadcastdLj256ELj64ELj100EEvPKT0_PS1_S1_.kd
    .uniform_work_group_size: 1
    .uses_dynamic_stack: false
    .vgpr_count:     5
    .vgpr_spill_count: 0
    .wavefront_size: 64
  - .args:
      - .address_space:  global
        .offset:         0
        .size:           8
        .value_kind:     global_buffer
      - .address_space:  global
        .offset:         8
        .size:           8
        .value_kind:     global_buffer
      - .offset:         16
        .size:           1
        .value_kind:     by_value
      - .offset:         24
        .size:           4
        .value_kind:     hidden_block_count_x
      - .offset:         28
        .size:           4
        .value_kind:     hidden_block_count_y
      - .offset:         32
        .size:           4
        .value_kind:     hidden_block_count_z
      - .offset:         36
        .size:           2
        .value_kind:     hidden_group_size_x
      - .offset:         38
        .size:           2
        .value_kind:     hidden_group_size_y
      - .offset:         40
        .size:           2
        .value_kind:     hidden_group_size_z
      - .offset:         42
        .size:           2
        .value_kind:     hidden_remainder_x
      - .offset:         44
        .size:           2
        .value_kind:     hidden_remainder_y
      - .offset:         46
        .size:           2
        .value_kind:     hidden_remainder_z
      - .offset:         64
        .size:           8
        .value_kind:     hidden_global_offset_x
      - .offset:         72
        .size:           8
        .value_kind:     hidden_global_offset_y
      - .offset:         80
        .size:           8
        .value_kind:     hidden_global_offset_z
      - .offset:         88
        .size:           2
        .value_kind:     hidden_grid_dims
    .group_segment_fixed_size: 15
    .kernarg_segment_align: 8
    .kernarg_segment_size: 280
    .language:       OpenCL C
    .language_version:
      - 2
      - 0
    .max_flat_workgroup_size: 60
    .name:           _Z6kernelI9broadcastaLj60ELj15ELj100EEvPKT0_PS1_S1_
    .private_segment_fixed_size: 0
    .sgpr_count:     12
    .sgpr_spill_count: 0
    .symbol:         _Z6kernelI9broadcastaLj60ELj15ELj100EEvPKT0_PS1_S1_.kd
    .uniform_work_group_size: 1
    .uses_dynamic_stack: false
    .vgpr_count:     4
    .vgpr_spill_count: 0
    .wavefront_size: 64
  - .args:
      - .address_space:  global
        .offset:         0
        .size:           8
        .value_kind:     global_buffer
      - .address_space:  global
        .offset:         8
        .size:           8
        .value_kind:     global_buffer
      - .offset:         16
        .size:           1
        .value_kind:     by_value
      - .offset:         24
        .size:           4
        .value_kind:     hidden_block_count_x
      - .offset:         28
        .size:           4
        .value_kind:     hidden_block_count_y
      - .offset:         32
        .size:           4
        .value_kind:     hidden_block_count_z
      - .offset:         36
        .size:           2
        .value_kind:     hidden_group_size_x
      - .offset:         38
        .size:           2
        .value_kind:     hidden_group_size_y
      - .offset:         40
        .size:           2
        .value_kind:     hidden_group_size_z
      - .offset:         42
        .size:           2
        .value_kind:     hidden_remainder_x
      - .offset:         44
        .size:           2
        .value_kind:     hidden_remainder_y
      - .offset:         46
        .size:           2
        .value_kind:     hidden_remainder_z
      - .offset:         64
        .size:           8
        .value_kind:     hidden_global_offset_x
      - .offset:         72
        .size:           8
        .value_kind:     hidden_global_offset_y
      - .offset:         80
        .size:           8
        .value_kind:     hidden_global_offset_z
      - .offset:         88
        .size:           2
        .value_kind:     hidden_grid_dims
    .group_segment_fixed_size: 0
    .kernarg_segment_align: 8
    .kernarg_segment_size: 280
    .language:       OpenCL C
    .language_version:
      - 2
      - 0
    .max_flat_workgroup_size: 256
    .name:           _Z6kernelI9broadcastaLj256ELj16ELj100EEvPKT0_PS1_S1_
    .private_segment_fixed_size: 0
    .sgpr_count:     12
    .sgpr_spill_count: 0
    .symbol:         _Z6kernelI9broadcastaLj256ELj16ELj100EEvPKT0_PS1_S1_.kd
    .uniform_work_group_size: 1
    .uses_dynamic_stack: false
    .vgpr_count:     3
    .vgpr_spill_count: 0
    .wavefront_size: 64
  - .args:
      - .address_space:  global
        .offset:         0
        .size:           8
        .value_kind:     global_buffer
      - .address_space:  global
        .offset:         8
        .size:           8
        .value_kind:     global_buffer
      - .offset:         16
        .size:           1
        .value_kind:     by_value
      - .offset:         24
        .size:           4
        .value_kind:     hidden_block_count_x
      - .offset:         28
        .size:           4
        .value_kind:     hidden_block_count_y
      - .offset:         32
        .size:           4
        .value_kind:     hidden_block_count_z
      - .offset:         36
        .size:           2
        .value_kind:     hidden_group_size_x
      - .offset:         38
        .size:           2
        .value_kind:     hidden_group_size_y
      - .offset:         40
        .size:           2
        .value_kind:     hidden_group_size_z
      - .offset:         42
        .size:           2
        .value_kind:     hidden_remainder_x
      - .offset:         44
        .size:           2
        .value_kind:     hidden_remainder_y
      - .offset:         46
        .size:           2
        .value_kind:     hidden_remainder_z
      - .offset:         64
        .size:           8
        .value_kind:     hidden_global_offset_x
      - .offset:         72
        .size:           8
        .value_kind:     hidden_global_offset_y
      - .offset:         80
        .size:           8
        .value_kind:     hidden_global_offset_z
      - .offset:         88
        .size:           2
        .value_kind:     hidden_grid_dims
    .group_segment_fixed_size: 31
    .kernarg_segment_align: 8
    .kernarg_segment_size: 280
    .language:       OpenCL C
    .language_version:
      - 2
      - 0
    .max_flat_workgroup_size: 62
    .name:           _Z6kernelI9broadcastaLj62ELj31ELj100EEvPKT0_PS1_S1_
    .private_segment_fixed_size: 0
    .sgpr_count:     12
    .sgpr_spill_count: 0
    .symbol:         _Z6kernelI9broadcastaLj62ELj31ELj100EEvPKT0_PS1_S1_.kd
    .uniform_work_group_size: 1
    .uses_dynamic_stack: false
    .vgpr_count:     4
    .vgpr_spill_count: 0
    .wavefront_size: 64
  - .args:
      - .address_space:  global
        .offset:         0
        .size:           8
        .value_kind:     global_buffer
      - .address_space:  global
        .offset:         8
        .size:           8
        .value_kind:     global_buffer
      - .offset:         16
        .size:           1
        .value_kind:     by_value
      - .offset:         24
        .size:           4
        .value_kind:     hidden_block_count_x
      - .offset:         28
        .size:           4
        .value_kind:     hidden_block_count_y
      - .offset:         32
        .size:           4
        .value_kind:     hidden_block_count_z
      - .offset:         36
        .size:           2
        .value_kind:     hidden_group_size_x
      - .offset:         38
        .size:           2
        .value_kind:     hidden_group_size_y
      - .offset:         40
        .size:           2
        .value_kind:     hidden_group_size_z
      - .offset:         42
        .size:           2
        .value_kind:     hidden_remainder_x
      - .offset:         44
        .size:           2
        .value_kind:     hidden_remainder_y
      - .offset:         46
        .size:           2
        .value_kind:     hidden_remainder_z
      - .offset:         64
        .size:           8
        .value_kind:     hidden_global_offset_x
      - .offset:         72
        .size:           8
        .value_kind:     hidden_global_offset_y
      - .offset:         80
        .size:           8
        .value_kind:     hidden_global_offset_z
      - .offset:         88
        .size:           2
        .value_kind:     hidden_grid_dims
    .group_segment_fixed_size: 0
    .kernarg_segment_align: 8
    .kernarg_segment_size: 280
    .language:       OpenCL C
    .language_version:
      - 2
      - 0
    .max_flat_workgroup_size: 256
    .name:           _Z6kernelI9broadcastaLj256ELj32ELj100EEvPKT0_PS1_S1_
    .private_segment_fixed_size: 0
    .sgpr_count:     12
    .sgpr_spill_count: 0
    .symbol:         _Z6kernelI9broadcastaLj256ELj32ELj100EEvPKT0_PS1_S1_.kd
    .uniform_work_group_size: 1
    .uses_dynamic_stack: false
    .vgpr_count:     3
    .vgpr_spill_count: 0
    .wavefront_size: 64
  - .args:
      - .address_space:  global
        .offset:         0
        .size:           8
        .value_kind:     global_buffer
      - .address_space:  global
        .offset:         8
        .size:           8
        .value_kind:     global_buffer
      - .offset:         16
        .size:           1
        .value_kind:     by_value
      - .offset:         24
        .size:           4
        .value_kind:     hidden_block_count_x
      - .offset:         28
        .size:           4
        .value_kind:     hidden_block_count_y
      - .offset:         32
        .size:           4
        .value_kind:     hidden_block_count_z
      - .offset:         36
        .size:           2
        .value_kind:     hidden_group_size_x
      - .offset:         38
        .size:           2
        .value_kind:     hidden_group_size_y
      - .offset:         40
        .size:           2
        .value_kind:     hidden_group_size_z
      - .offset:         42
        .size:           2
        .value_kind:     hidden_remainder_x
      - .offset:         44
        .size:           2
        .value_kind:     hidden_remainder_y
      - .offset:         46
        .size:           2
        .value_kind:     hidden_remainder_z
      - .offset:         64
        .size:           8
        .value_kind:     hidden_global_offset_x
      - .offset:         72
        .size:           8
        .value_kind:     hidden_global_offset_y
      - .offset:         80
        .size:           8
        .value_kind:     hidden_global_offset_z
      - .offset:         88
        .size:           2
        .value_kind:     hidden_grid_dims
    .group_segment_fixed_size: 63
    .kernarg_segment_align: 8
    .kernarg_segment_size: 280
    .language:       OpenCL C
    .language_version:
      - 2
      - 0
    .max_flat_workgroup_size: 63
    .name:           _Z6kernelI9broadcastaLj63ELj63ELj100EEvPKT0_PS1_S1_
    .private_segment_fixed_size: 0
    .sgpr_count:     12
    .sgpr_spill_count: 0
    .symbol:         _Z6kernelI9broadcastaLj63ELj63ELj100EEvPKT0_PS1_S1_.kd
    .uniform_work_group_size: 1
    .uses_dynamic_stack: false
    .vgpr_count:     4
    .vgpr_spill_count: 0
    .wavefront_size: 64
  - .args:
      - .address_space:  global
        .offset:         0
        .size:           8
        .value_kind:     global_buffer
      - .address_space:  global
        .offset:         8
        .size:           8
        .value_kind:     global_buffer
      - .offset:         16
        .size:           1
        .value_kind:     by_value
      - .offset:         24
        .size:           4
        .value_kind:     hidden_block_count_x
      - .offset:         28
        .size:           4
        .value_kind:     hidden_block_count_y
      - .offset:         32
        .size:           4
        .value_kind:     hidden_block_count_z
      - .offset:         36
        .size:           2
        .value_kind:     hidden_group_size_x
      - .offset:         38
        .size:           2
        .value_kind:     hidden_group_size_y
      - .offset:         40
        .size:           2
        .value_kind:     hidden_group_size_z
      - .offset:         42
        .size:           2
        .value_kind:     hidden_remainder_x
      - .offset:         44
        .size:           2
        .value_kind:     hidden_remainder_y
      - .offset:         46
        .size:           2
        .value_kind:     hidden_remainder_z
      - .offset:         64
        .size:           8
        .value_kind:     hidden_global_offset_x
      - .offset:         72
        .size:           8
        .value_kind:     hidden_global_offset_y
      - .offset:         80
        .size:           8
        .value_kind:     hidden_global_offset_z
      - .offset:         88
        .size:           2
        .value_kind:     hidden_grid_dims
    .group_segment_fixed_size: 0
    .kernarg_segment_align: 8
    .kernarg_segment_size: 280
    .language:       OpenCL C
    .language_version:
      - 2
      - 0
    .max_flat_workgroup_size: 64
    .name:           _Z6kernelI9broadcastaLj64ELj64ELj100EEvPKT0_PS1_S1_
    .private_segment_fixed_size: 0
    .sgpr_count:     12
    .sgpr_spill_count: 0
    .symbol:         _Z6kernelI9broadcastaLj64ELj64ELj100EEvPKT0_PS1_S1_.kd
    .uniform_work_group_size: 1
    .uses_dynamic_stack: false
    .vgpr_count:     3
    .vgpr_spill_count: 0
    .wavefront_size: 64
  - .args:
      - .address_space:  global
        .offset:         0
        .size:           8
        .value_kind:     global_buffer
      - .address_space:  global
        .offset:         8
        .size:           8
        .value_kind:     global_buffer
      - .offset:         16
        .size:           1
        .value_kind:     by_value
      - .offset:         24
        .size:           4
        .value_kind:     hidden_block_count_x
      - .offset:         28
        .size:           4
        .value_kind:     hidden_block_count_y
      - .offset:         32
        .size:           4
        .value_kind:     hidden_block_count_z
      - .offset:         36
        .size:           2
        .value_kind:     hidden_group_size_x
      - .offset:         38
        .size:           2
        .value_kind:     hidden_group_size_y
      - .offset:         40
        .size:           2
        .value_kind:     hidden_group_size_z
      - .offset:         42
        .size:           2
        .value_kind:     hidden_remainder_x
      - .offset:         44
        .size:           2
        .value_kind:     hidden_remainder_y
      - .offset:         46
        .size:           2
        .value_kind:     hidden_remainder_z
      - .offset:         64
        .size:           8
        .value_kind:     hidden_global_offset_x
      - .offset:         72
        .size:           8
        .value_kind:     hidden_global_offset_y
      - .offset:         80
        .size:           8
        .value_kind:     hidden_global_offset_z
      - .offset:         88
        .size:           2
        .value_kind:     hidden_grid_dims
    .group_segment_fixed_size: 0
    .kernarg_segment_align: 8
    .kernarg_segment_size: 280
    .language:       OpenCL C
    .language_version:
      - 2
      - 0
    .max_flat_workgroup_size: 128
    .name:           _Z6kernelI9broadcastaLj128ELj64ELj100EEvPKT0_PS1_S1_
    .private_segment_fixed_size: 0
    .sgpr_count:     12
    .sgpr_spill_count: 0
    .symbol:         _Z6kernelI9broadcastaLj128ELj64ELj100EEvPKT0_PS1_S1_.kd
    .uniform_work_group_size: 1
    .uses_dynamic_stack: false
    .vgpr_count:     3
    .vgpr_spill_count: 0
    .wavefront_size: 64
  - .args:
      - .address_space:  global
        .offset:         0
        .size:           8
        .value_kind:     global_buffer
      - .address_space:  global
        .offset:         8
        .size:           8
        .value_kind:     global_buffer
      - .offset:         16
        .size:           1
        .value_kind:     by_value
      - .offset:         24
        .size:           4
        .value_kind:     hidden_block_count_x
      - .offset:         28
        .size:           4
        .value_kind:     hidden_block_count_y
      - .offset:         32
        .size:           4
        .value_kind:     hidden_block_count_z
      - .offset:         36
        .size:           2
        .value_kind:     hidden_group_size_x
      - .offset:         38
        .size:           2
        .value_kind:     hidden_group_size_y
      - .offset:         40
        .size:           2
        .value_kind:     hidden_group_size_z
      - .offset:         42
        .size:           2
        .value_kind:     hidden_remainder_x
      - .offset:         44
        .size:           2
        .value_kind:     hidden_remainder_y
      - .offset:         46
        .size:           2
        .value_kind:     hidden_remainder_z
      - .offset:         64
        .size:           8
        .value_kind:     hidden_global_offset_x
      - .offset:         72
        .size:           8
        .value_kind:     hidden_global_offset_y
      - .offset:         80
        .size:           8
        .value_kind:     hidden_global_offset_z
      - .offset:         88
        .size:           2
        .value_kind:     hidden_grid_dims
    .group_segment_fixed_size: 0
    .kernarg_segment_align: 8
    .kernarg_segment_size: 280
    .language:       OpenCL C
    .language_version:
      - 2
      - 0
    .max_flat_workgroup_size: 256
    .name:           _Z6kernelI9broadcastaLj256ELj64ELj100EEvPKT0_PS1_S1_
    .private_segment_fixed_size: 0
    .sgpr_count:     12
    .sgpr_spill_count: 0
    .symbol:         _Z6kernelI9broadcastaLj256ELj64ELj100EEvPKT0_PS1_S1_.kd
    .uniform_work_group_size: 1
    .uses_dynamic_stack: false
    .vgpr_count:     3
    .vgpr_spill_count: 0
    .wavefront_size: 64
  - .args:
      - .address_space:  global
        .offset:         0
        .size:           8
        .value_kind:     global_buffer
      - .address_space:  global
        .offset:         8
        .size:           8
        .value_kind:     global_buffer
      - .offset:         16
        .size:           16
        .value_kind:     by_value
      - .offset:         32
        .size:           4
        .value_kind:     hidden_block_count_x
      - .offset:         36
        .size:           4
        .value_kind:     hidden_block_count_y
      - .offset:         40
        .size:           4
        .value_kind:     hidden_block_count_z
      - .offset:         44
        .size:           2
        .value_kind:     hidden_group_size_x
      - .offset:         46
        .size:           2
        .value_kind:     hidden_group_size_y
      - .offset:         48
        .size:           2
        .value_kind:     hidden_group_size_z
      - .offset:         50
        .size:           2
        .value_kind:     hidden_remainder_x
      - .offset:         52
        .size:           2
        .value_kind:     hidden_remainder_y
      - .offset:         54
        .size:           2
        .value_kind:     hidden_remainder_z
      - .offset:         72
        .size:           8
        .value_kind:     hidden_global_offset_x
      - .offset:         80
        .size:           8
        .value_kind:     hidden_global_offset_y
      - .offset:         88
        .size:           8
        .value_kind:     hidden_global_offset_z
      - .offset:         96
        .size:           2
        .value_kind:     hidden_grid_dims
    .group_segment_fixed_size: 240
    .kernarg_segment_align: 8
    .kernarg_segment_size: 288
    .language:       OpenCL C
    .language_version:
      - 2
      - 0
    .max_flat_workgroup_size: 60
    .name:           _Z6kernelI9broadcastN15benchmark_utils11custom_typeIddEELj60ELj15ELj100EEvPKT0_PS4_S4_
    .private_segment_fixed_size: 0
    .sgpr_count:     12
    .sgpr_spill_count: 0
    .symbol:         _Z6kernelI9broadcastN15benchmark_utils11custom_typeIddEELj60ELj15ELj100EEvPKT0_PS4_S4_.kd
    .uniform_work_group_size: 1
    .uses_dynamic_stack: false
    .vgpr_count:     8
    .vgpr_spill_count: 0
    .wavefront_size: 64
  - .args:
      - .address_space:  global
        .offset:         0
        .size:           8
        .value_kind:     global_buffer
      - .address_space:  global
        .offset:         8
        .size:           8
        .value_kind:     global_buffer
      - .offset:         16
        .size:           16
        .value_kind:     by_value
      - .offset:         32
        .size:           4
        .value_kind:     hidden_block_count_x
      - .offset:         36
        .size:           4
        .value_kind:     hidden_block_count_y
      - .offset:         40
        .size:           4
        .value_kind:     hidden_block_count_z
      - .offset:         44
        .size:           2
        .value_kind:     hidden_group_size_x
      - .offset:         46
        .size:           2
        .value_kind:     hidden_group_size_y
      - .offset:         48
        .size:           2
        .value_kind:     hidden_group_size_z
      - .offset:         50
        .size:           2
        .value_kind:     hidden_remainder_x
      - .offset:         52
        .size:           2
        .value_kind:     hidden_remainder_y
      - .offset:         54
        .size:           2
        .value_kind:     hidden_remainder_z
      - .offset:         72
        .size:           8
        .value_kind:     hidden_global_offset_x
      - .offset:         80
        .size:           8
        .value_kind:     hidden_global_offset_y
      - .offset:         88
        .size:           8
        .value_kind:     hidden_global_offset_z
      - .offset:         96
        .size:           2
        .value_kind:     hidden_grid_dims
    .group_segment_fixed_size: 0
    .kernarg_segment_align: 8
    .kernarg_segment_size: 288
    .language:       OpenCL C
    .language_version:
      - 2
      - 0
    .max_flat_workgroup_size: 256
    .name:           _Z6kernelI9broadcastN15benchmark_utils11custom_typeIddEELj256ELj16ELj100EEvPKT0_PS4_S4_
    .private_segment_fixed_size: 0
    .sgpr_count:     12
    .sgpr_spill_count: 0
    .symbol:         _Z6kernelI9broadcastN15benchmark_utils11custom_typeIddEELj256ELj16ELj100EEvPKT0_PS4_S4_.kd
    .uniform_work_group_size: 1
    .uses_dynamic_stack: false
    .vgpr_count:     7
    .vgpr_spill_count: 0
    .wavefront_size: 64
  - .args:
      - .address_space:  global
        .offset:         0
        .size:           8
        .value_kind:     global_buffer
      - .address_space:  global
        .offset:         8
        .size:           8
        .value_kind:     global_buffer
      - .offset:         16
        .size:           16
        .value_kind:     by_value
      - .offset:         32
        .size:           4
        .value_kind:     hidden_block_count_x
      - .offset:         36
        .size:           4
        .value_kind:     hidden_block_count_y
      - .offset:         40
        .size:           4
        .value_kind:     hidden_block_count_z
      - .offset:         44
        .size:           2
        .value_kind:     hidden_group_size_x
      - .offset:         46
        .size:           2
        .value_kind:     hidden_group_size_y
      - .offset:         48
        .size:           2
        .value_kind:     hidden_group_size_z
      - .offset:         50
        .size:           2
        .value_kind:     hidden_remainder_x
      - .offset:         52
        .size:           2
        .value_kind:     hidden_remainder_y
      - .offset:         54
        .size:           2
        .value_kind:     hidden_remainder_z
      - .offset:         72
        .size:           8
        .value_kind:     hidden_global_offset_x
      - .offset:         80
        .size:           8
        .value_kind:     hidden_global_offset_y
      - .offset:         88
        .size:           8
        .value_kind:     hidden_global_offset_z
      - .offset:         96
        .size:           2
        .value_kind:     hidden_grid_dims
    .group_segment_fixed_size: 496
    .kernarg_segment_align: 8
    .kernarg_segment_size: 288
    .language:       OpenCL C
    .language_version:
      - 2
      - 0
    .max_flat_workgroup_size: 62
    .name:           _Z6kernelI9broadcastN15benchmark_utils11custom_typeIddEELj62ELj31ELj100EEvPKT0_PS4_S4_
    .private_segment_fixed_size: 0
    .sgpr_count:     12
    .sgpr_spill_count: 0
    .symbol:         _Z6kernelI9broadcastN15benchmark_utils11custom_typeIddEELj62ELj31ELj100EEvPKT0_PS4_S4_.kd
    .uniform_work_group_size: 1
    .uses_dynamic_stack: false
    .vgpr_count:     8
    .vgpr_spill_count: 0
    .wavefront_size: 64
  - .args:
      - .address_space:  global
        .offset:         0
        .size:           8
        .value_kind:     global_buffer
      - .address_space:  global
        .offset:         8
        .size:           8
        .value_kind:     global_buffer
      - .offset:         16
        .size:           16
        .value_kind:     by_value
      - .offset:         32
        .size:           4
        .value_kind:     hidden_block_count_x
      - .offset:         36
        .size:           4
        .value_kind:     hidden_block_count_y
      - .offset:         40
        .size:           4
        .value_kind:     hidden_block_count_z
      - .offset:         44
        .size:           2
        .value_kind:     hidden_group_size_x
      - .offset:         46
        .size:           2
        .value_kind:     hidden_group_size_y
      - .offset:         48
        .size:           2
        .value_kind:     hidden_group_size_z
      - .offset:         50
        .size:           2
        .value_kind:     hidden_remainder_x
      - .offset:         52
        .size:           2
        .value_kind:     hidden_remainder_y
      - .offset:         54
        .size:           2
        .value_kind:     hidden_remainder_z
      - .offset:         72
        .size:           8
        .value_kind:     hidden_global_offset_x
      - .offset:         80
        .size:           8
        .value_kind:     hidden_global_offset_y
      - .offset:         88
        .size:           8
        .value_kind:     hidden_global_offset_z
      - .offset:         96
        .size:           2
        .value_kind:     hidden_grid_dims
    .group_segment_fixed_size: 0
    .kernarg_segment_align: 8
    .kernarg_segment_size: 288
    .language:       OpenCL C
    .language_version:
      - 2
      - 0
    .max_flat_workgroup_size: 256
    .name:           _Z6kernelI9broadcastN15benchmark_utils11custom_typeIddEELj256ELj32ELj100EEvPKT0_PS4_S4_
    .private_segment_fixed_size: 0
    .sgpr_count:     12
    .sgpr_spill_count: 0
    .symbol:         _Z6kernelI9broadcastN15benchmark_utils11custom_typeIddEELj256ELj32ELj100EEvPKT0_PS4_S4_.kd
    .uniform_work_group_size: 1
    .uses_dynamic_stack: false
    .vgpr_count:     7
    .vgpr_spill_count: 0
    .wavefront_size: 64
  - .args:
      - .address_space:  global
        .offset:         0
        .size:           8
        .value_kind:     global_buffer
      - .address_space:  global
        .offset:         8
        .size:           8
        .value_kind:     global_buffer
      - .offset:         16
        .size:           16
        .value_kind:     by_value
      - .offset:         32
        .size:           4
        .value_kind:     hidden_block_count_x
      - .offset:         36
        .size:           4
        .value_kind:     hidden_block_count_y
      - .offset:         40
        .size:           4
        .value_kind:     hidden_block_count_z
      - .offset:         44
        .size:           2
        .value_kind:     hidden_group_size_x
      - .offset:         46
        .size:           2
        .value_kind:     hidden_group_size_y
      - .offset:         48
        .size:           2
        .value_kind:     hidden_group_size_z
      - .offset:         50
        .size:           2
        .value_kind:     hidden_remainder_x
      - .offset:         52
        .size:           2
        .value_kind:     hidden_remainder_y
      - .offset:         54
        .size:           2
        .value_kind:     hidden_remainder_z
      - .offset:         72
        .size:           8
        .value_kind:     hidden_global_offset_x
      - .offset:         80
        .size:           8
        .value_kind:     hidden_global_offset_y
      - .offset:         88
        .size:           8
        .value_kind:     hidden_global_offset_z
      - .offset:         96
        .size:           2
        .value_kind:     hidden_grid_dims
    .group_segment_fixed_size: 1008
    .kernarg_segment_align: 8
    .kernarg_segment_size: 288
    .language:       OpenCL C
    .language_version:
      - 2
      - 0
    .max_flat_workgroup_size: 63
    .name:           _Z6kernelI9broadcastN15benchmark_utils11custom_typeIddEELj63ELj63ELj100EEvPKT0_PS4_S4_
    .private_segment_fixed_size: 0
    .sgpr_count:     12
    .sgpr_spill_count: 0
    .symbol:         _Z6kernelI9broadcastN15benchmark_utils11custom_typeIddEELj63ELj63ELj100EEvPKT0_PS4_S4_.kd
    .uniform_work_group_size: 1
    .uses_dynamic_stack: false
    .vgpr_count:     8
    .vgpr_spill_count: 0
    .wavefront_size: 64
  - .args:
      - .address_space:  global
        .offset:         0
        .size:           8
        .value_kind:     global_buffer
      - .address_space:  global
        .offset:         8
        .size:           8
        .value_kind:     global_buffer
      - .offset:         16
        .size:           16
        .value_kind:     by_value
      - .offset:         32
        .size:           4
        .value_kind:     hidden_block_count_x
      - .offset:         36
        .size:           4
        .value_kind:     hidden_block_count_y
      - .offset:         40
        .size:           4
        .value_kind:     hidden_block_count_z
      - .offset:         44
        .size:           2
        .value_kind:     hidden_group_size_x
      - .offset:         46
        .size:           2
        .value_kind:     hidden_group_size_y
      - .offset:         48
        .size:           2
        .value_kind:     hidden_group_size_z
      - .offset:         50
        .size:           2
        .value_kind:     hidden_remainder_x
      - .offset:         52
        .size:           2
        .value_kind:     hidden_remainder_y
      - .offset:         54
        .size:           2
        .value_kind:     hidden_remainder_z
      - .offset:         72
        .size:           8
        .value_kind:     hidden_global_offset_x
      - .offset:         80
        .size:           8
        .value_kind:     hidden_global_offset_y
      - .offset:         88
        .size:           8
        .value_kind:     hidden_global_offset_z
      - .offset:         96
        .size:           2
        .value_kind:     hidden_grid_dims
    .group_segment_fixed_size: 0
    .kernarg_segment_align: 8
    .kernarg_segment_size: 288
    .language:       OpenCL C
    .language_version:
      - 2
      - 0
    .max_flat_workgroup_size: 64
    .name:           _Z6kernelI9broadcastN15benchmark_utils11custom_typeIddEELj64ELj64ELj100EEvPKT0_PS4_S4_
    .private_segment_fixed_size: 0
    .sgpr_count:     12
    .sgpr_spill_count: 0
    .symbol:         _Z6kernelI9broadcastN15benchmark_utils11custom_typeIddEELj64ELj64ELj100EEvPKT0_PS4_S4_.kd
    .uniform_work_group_size: 1
    .uses_dynamic_stack: false
    .vgpr_count:     7
    .vgpr_spill_count: 0
    .wavefront_size: 64
  - .args:
      - .address_space:  global
        .offset:         0
        .size:           8
        .value_kind:     global_buffer
      - .address_space:  global
        .offset:         8
        .size:           8
        .value_kind:     global_buffer
      - .offset:         16
        .size:           16
        .value_kind:     by_value
      - .offset:         32
        .size:           4
        .value_kind:     hidden_block_count_x
      - .offset:         36
        .size:           4
        .value_kind:     hidden_block_count_y
      - .offset:         40
        .size:           4
        .value_kind:     hidden_block_count_z
      - .offset:         44
        .size:           2
        .value_kind:     hidden_group_size_x
      - .offset:         46
        .size:           2
        .value_kind:     hidden_group_size_y
      - .offset:         48
        .size:           2
        .value_kind:     hidden_group_size_z
      - .offset:         50
        .size:           2
        .value_kind:     hidden_remainder_x
      - .offset:         52
        .size:           2
        .value_kind:     hidden_remainder_y
      - .offset:         54
        .size:           2
        .value_kind:     hidden_remainder_z
      - .offset:         72
        .size:           8
        .value_kind:     hidden_global_offset_x
      - .offset:         80
        .size:           8
        .value_kind:     hidden_global_offset_y
      - .offset:         88
        .size:           8
        .value_kind:     hidden_global_offset_z
      - .offset:         96
        .size:           2
        .value_kind:     hidden_grid_dims
    .group_segment_fixed_size: 0
    .kernarg_segment_align: 8
    .kernarg_segment_size: 288
    .language:       OpenCL C
    .language_version:
      - 2
      - 0
    .max_flat_workgroup_size: 128
    .name:           _Z6kernelI9broadcastN15benchmark_utils11custom_typeIddEELj128ELj64ELj100EEvPKT0_PS4_S4_
    .private_segment_fixed_size: 0
    .sgpr_count:     12
    .sgpr_spill_count: 0
    .symbol:         _Z6kernelI9broadcastN15benchmark_utils11custom_typeIddEELj128ELj64ELj100EEvPKT0_PS4_S4_.kd
    .uniform_work_group_size: 1
    .uses_dynamic_stack: false
    .vgpr_count:     7
    .vgpr_spill_count: 0
    .wavefront_size: 64
  - .args:
      - .address_space:  global
        .offset:         0
        .size:           8
        .value_kind:     global_buffer
      - .address_space:  global
        .offset:         8
        .size:           8
        .value_kind:     global_buffer
      - .offset:         16
        .size:           16
        .value_kind:     by_value
      - .offset:         32
        .size:           4
        .value_kind:     hidden_block_count_x
      - .offset:         36
        .size:           4
        .value_kind:     hidden_block_count_y
      - .offset:         40
        .size:           4
        .value_kind:     hidden_block_count_z
      - .offset:         44
        .size:           2
        .value_kind:     hidden_group_size_x
      - .offset:         46
        .size:           2
        .value_kind:     hidden_group_size_y
      - .offset:         48
        .size:           2
        .value_kind:     hidden_group_size_z
      - .offset:         50
        .size:           2
        .value_kind:     hidden_remainder_x
      - .offset:         52
        .size:           2
        .value_kind:     hidden_remainder_y
      - .offset:         54
        .size:           2
        .value_kind:     hidden_remainder_z
      - .offset:         72
        .size:           8
        .value_kind:     hidden_global_offset_x
      - .offset:         80
        .size:           8
        .value_kind:     hidden_global_offset_y
      - .offset:         88
        .size:           8
        .value_kind:     hidden_global_offset_z
      - .offset:         96
        .size:           2
        .value_kind:     hidden_grid_dims
    .group_segment_fixed_size: 0
    .kernarg_segment_align: 8
    .kernarg_segment_size: 288
    .language:       OpenCL C
    .language_version:
      - 2
      - 0
    .max_flat_workgroup_size: 256
    .name:           _Z6kernelI9broadcastN15benchmark_utils11custom_typeIddEELj256ELj64ELj100EEvPKT0_PS4_S4_
    .private_segment_fixed_size: 0
    .sgpr_count:     12
    .sgpr_spill_count: 0
    .symbol:         _Z6kernelI9broadcastN15benchmark_utils11custom_typeIddEELj256ELj64ELj100EEvPKT0_PS4_S4_.kd
    .uniform_work_group_size: 1
    .uses_dynamic_stack: false
    .vgpr_count:     7
    .vgpr_spill_count: 0
    .wavefront_size: 64
  - .args:
      - .address_space:  global
        .offset:         0
        .size:           8
        .value_kind:     global_buffer
      - .address_space:  global
        .offset:         8
        .size:           8
        .value_kind:     global_buffer
      - .offset:         16
        .size:           16
        .value_kind:     by_value
      - .offset:         32
        .size:           4
        .value_kind:     hidden_block_count_x
      - .offset:         36
        .size:           4
        .value_kind:     hidden_block_count_y
      - .offset:         40
        .size:           4
        .value_kind:     hidden_block_count_z
      - .offset:         44
        .size:           2
        .value_kind:     hidden_group_size_x
      - .offset:         46
        .size:           2
        .value_kind:     hidden_group_size_y
      - .offset:         48
        .size:           2
        .value_kind:     hidden_group_size_z
      - .offset:         50
        .size:           2
        .value_kind:     hidden_remainder_x
      - .offset:         52
        .size:           2
        .value_kind:     hidden_remainder_y
      - .offset:         54
        .size:           2
        .value_kind:     hidden_remainder_z
      - .offset:         72
        .size:           8
        .value_kind:     hidden_global_offset_x
      - .offset:         80
        .size:           8
        .value_kind:     hidden_global_offset_y
      - .offset:         88
        .size:           8
        .value_kind:     hidden_global_offset_z
      - .offset:         96
        .size:           2
        .value_kind:     hidden_grid_dims
    .group_segment_fixed_size: 240
    .kernarg_segment_align: 8
    .kernarg_segment_size: 288
    .language:       OpenCL C
    .language_version:
      - 2
      - 0
    .max_flat_workgroup_size: 60
    .name:           _Z6kernelI9broadcastN15benchmark_utils11custom_typeIidEELj60ELj15ELj100EEvPKT0_PS4_S4_
    .private_segment_fixed_size: 0
    .sgpr_count:     12
    .sgpr_spill_count: 0
    .symbol:         _Z6kernelI9broadcastN15benchmark_utils11custom_typeIidEELj60ELj15ELj100EEvPKT0_PS4_S4_.kd
    .uniform_work_group_size: 1
    .uses_dynamic_stack: false
    .vgpr_count:     8
    .vgpr_spill_count: 0
    .wavefront_size: 64
  - .args:
      - .address_space:  global
        .offset:         0
        .size:           8
        .value_kind:     global_buffer
      - .address_space:  global
        .offset:         8
        .size:           8
        .value_kind:     global_buffer
      - .offset:         16
        .size:           16
        .value_kind:     by_value
      - .offset:         32
        .size:           4
        .value_kind:     hidden_block_count_x
      - .offset:         36
        .size:           4
        .value_kind:     hidden_block_count_y
      - .offset:         40
        .size:           4
        .value_kind:     hidden_block_count_z
      - .offset:         44
        .size:           2
        .value_kind:     hidden_group_size_x
      - .offset:         46
        .size:           2
        .value_kind:     hidden_group_size_y
      - .offset:         48
        .size:           2
        .value_kind:     hidden_group_size_z
      - .offset:         50
        .size:           2
        .value_kind:     hidden_remainder_x
      - .offset:         52
        .size:           2
        .value_kind:     hidden_remainder_y
      - .offset:         54
        .size:           2
        .value_kind:     hidden_remainder_z
      - .offset:         72
        .size:           8
        .value_kind:     hidden_global_offset_x
      - .offset:         80
        .size:           8
        .value_kind:     hidden_global_offset_y
      - .offset:         88
        .size:           8
        .value_kind:     hidden_global_offset_z
      - .offset:         96
        .size:           2
        .value_kind:     hidden_grid_dims
    .group_segment_fixed_size: 0
    .kernarg_segment_align: 8
    .kernarg_segment_size: 288
    .language:       OpenCL C
    .language_version:
      - 2
      - 0
    .max_flat_workgroup_size: 256
    .name:           _Z6kernelI9broadcastN15benchmark_utils11custom_typeIidEELj256ELj16ELj100EEvPKT0_PS4_S4_
    .private_segment_fixed_size: 0
    .sgpr_count:     12
    .sgpr_spill_count: 0
    .symbol:         _Z6kernelI9broadcastN15benchmark_utils11custom_typeIidEELj256ELj16ELj100EEvPKT0_PS4_S4_.kd
    .uniform_work_group_size: 1
    .uses_dynamic_stack: false
    .vgpr_count:     7
    .vgpr_spill_count: 0
    .wavefront_size: 64
  - .args:
      - .address_space:  global
        .offset:         0
        .size:           8
        .value_kind:     global_buffer
      - .address_space:  global
        .offset:         8
        .size:           8
        .value_kind:     global_buffer
      - .offset:         16
        .size:           16
        .value_kind:     by_value
      - .offset:         32
        .size:           4
        .value_kind:     hidden_block_count_x
      - .offset:         36
        .size:           4
        .value_kind:     hidden_block_count_y
      - .offset:         40
        .size:           4
        .value_kind:     hidden_block_count_z
      - .offset:         44
        .size:           2
        .value_kind:     hidden_group_size_x
      - .offset:         46
        .size:           2
        .value_kind:     hidden_group_size_y
      - .offset:         48
        .size:           2
        .value_kind:     hidden_group_size_z
      - .offset:         50
        .size:           2
        .value_kind:     hidden_remainder_x
      - .offset:         52
        .size:           2
        .value_kind:     hidden_remainder_y
      - .offset:         54
        .size:           2
        .value_kind:     hidden_remainder_z
      - .offset:         72
        .size:           8
        .value_kind:     hidden_global_offset_x
      - .offset:         80
        .size:           8
        .value_kind:     hidden_global_offset_y
      - .offset:         88
        .size:           8
        .value_kind:     hidden_global_offset_z
      - .offset:         96
        .size:           2
        .value_kind:     hidden_grid_dims
    .group_segment_fixed_size: 496
    .kernarg_segment_align: 8
    .kernarg_segment_size: 288
    .language:       OpenCL C
    .language_version:
      - 2
      - 0
    .max_flat_workgroup_size: 62
    .name:           _Z6kernelI9broadcastN15benchmark_utils11custom_typeIidEELj62ELj31ELj100EEvPKT0_PS4_S4_
    .private_segment_fixed_size: 0
    .sgpr_count:     12
    .sgpr_spill_count: 0
    .symbol:         _Z6kernelI9broadcastN15benchmark_utils11custom_typeIidEELj62ELj31ELj100EEvPKT0_PS4_S4_.kd
    .uniform_work_group_size: 1
    .uses_dynamic_stack: false
    .vgpr_count:     8
    .vgpr_spill_count: 0
    .wavefront_size: 64
  - .args:
      - .address_space:  global
        .offset:         0
        .size:           8
        .value_kind:     global_buffer
      - .address_space:  global
        .offset:         8
        .size:           8
        .value_kind:     global_buffer
      - .offset:         16
        .size:           16
        .value_kind:     by_value
      - .offset:         32
        .size:           4
        .value_kind:     hidden_block_count_x
      - .offset:         36
        .size:           4
        .value_kind:     hidden_block_count_y
      - .offset:         40
        .size:           4
        .value_kind:     hidden_block_count_z
      - .offset:         44
        .size:           2
        .value_kind:     hidden_group_size_x
      - .offset:         46
        .size:           2
        .value_kind:     hidden_group_size_y
      - .offset:         48
        .size:           2
        .value_kind:     hidden_group_size_z
      - .offset:         50
        .size:           2
        .value_kind:     hidden_remainder_x
      - .offset:         52
        .size:           2
        .value_kind:     hidden_remainder_y
      - .offset:         54
        .size:           2
        .value_kind:     hidden_remainder_z
      - .offset:         72
        .size:           8
        .value_kind:     hidden_global_offset_x
      - .offset:         80
        .size:           8
        .value_kind:     hidden_global_offset_y
      - .offset:         88
        .size:           8
        .value_kind:     hidden_global_offset_z
      - .offset:         96
        .size:           2
        .value_kind:     hidden_grid_dims
    .group_segment_fixed_size: 0
    .kernarg_segment_align: 8
    .kernarg_segment_size: 288
    .language:       OpenCL C
    .language_version:
      - 2
      - 0
    .max_flat_workgroup_size: 256
    .name:           _Z6kernelI9broadcastN15benchmark_utils11custom_typeIidEELj256ELj32ELj100EEvPKT0_PS4_S4_
    .private_segment_fixed_size: 0
    .sgpr_count:     12
    .sgpr_spill_count: 0
    .symbol:         _Z6kernelI9broadcastN15benchmark_utils11custom_typeIidEELj256ELj32ELj100EEvPKT0_PS4_S4_.kd
    .uniform_work_group_size: 1
    .uses_dynamic_stack: false
    .vgpr_count:     7
    .vgpr_spill_count: 0
    .wavefront_size: 64
  - .args:
      - .address_space:  global
        .offset:         0
        .size:           8
        .value_kind:     global_buffer
      - .address_space:  global
        .offset:         8
        .size:           8
        .value_kind:     global_buffer
      - .offset:         16
        .size:           16
        .value_kind:     by_value
      - .offset:         32
        .size:           4
        .value_kind:     hidden_block_count_x
      - .offset:         36
        .size:           4
        .value_kind:     hidden_block_count_y
      - .offset:         40
        .size:           4
        .value_kind:     hidden_block_count_z
      - .offset:         44
        .size:           2
        .value_kind:     hidden_group_size_x
      - .offset:         46
        .size:           2
        .value_kind:     hidden_group_size_y
      - .offset:         48
        .size:           2
        .value_kind:     hidden_group_size_z
      - .offset:         50
        .size:           2
        .value_kind:     hidden_remainder_x
      - .offset:         52
        .size:           2
        .value_kind:     hidden_remainder_y
      - .offset:         54
        .size:           2
        .value_kind:     hidden_remainder_z
      - .offset:         72
        .size:           8
        .value_kind:     hidden_global_offset_x
      - .offset:         80
        .size:           8
        .value_kind:     hidden_global_offset_y
      - .offset:         88
        .size:           8
        .value_kind:     hidden_global_offset_z
      - .offset:         96
        .size:           2
        .value_kind:     hidden_grid_dims
    .group_segment_fixed_size: 1008
    .kernarg_segment_align: 8
    .kernarg_segment_size: 288
    .language:       OpenCL C
    .language_version:
      - 2
      - 0
    .max_flat_workgroup_size: 63
    .name:           _Z6kernelI9broadcastN15benchmark_utils11custom_typeIidEELj63ELj63ELj100EEvPKT0_PS4_S4_
    .private_segment_fixed_size: 0
    .sgpr_count:     12
    .sgpr_spill_count: 0
    .symbol:         _Z6kernelI9broadcastN15benchmark_utils11custom_typeIidEELj63ELj63ELj100EEvPKT0_PS4_S4_.kd
    .uniform_work_group_size: 1
    .uses_dynamic_stack: false
    .vgpr_count:     8
    .vgpr_spill_count: 0
    .wavefront_size: 64
  - .args:
      - .address_space:  global
        .offset:         0
        .size:           8
        .value_kind:     global_buffer
      - .address_space:  global
        .offset:         8
        .size:           8
        .value_kind:     global_buffer
      - .offset:         16
        .size:           16
        .value_kind:     by_value
      - .offset:         32
        .size:           4
        .value_kind:     hidden_block_count_x
      - .offset:         36
        .size:           4
        .value_kind:     hidden_block_count_y
      - .offset:         40
        .size:           4
        .value_kind:     hidden_block_count_z
      - .offset:         44
        .size:           2
        .value_kind:     hidden_group_size_x
      - .offset:         46
        .size:           2
        .value_kind:     hidden_group_size_y
      - .offset:         48
        .size:           2
        .value_kind:     hidden_group_size_z
      - .offset:         50
        .size:           2
        .value_kind:     hidden_remainder_x
      - .offset:         52
        .size:           2
        .value_kind:     hidden_remainder_y
      - .offset:         54
        .size:           2
        .value_kind:     hidden_remainder_z
      - .offset:         72
        .size:           8
        .value_kind:     hidden_global_offset_x
      - .offset:         80
        .size:           8
        .value_kind:     hidden_global_offset_y
      - .offset:         88
        .size:           8
        .value_kind:     hidden_global_offset_z
      - .offset:         96
        .size:           2
        .value_kind:     hidden_grid_dims
    .group_segment_fixed_size: 0
    .kernarg_segment_align: 8
    .kernarg_segment_size: 288
    .language:       OpenCL C
    .language_version:
      - 2
      - 0
    .max_flat_workgroup_size: 64
    .name:           _Z6kernelI9broadcastN15benchmark_utils11custom_typeIidEELj64ELj64ELj100EEvPKT0_PS4_S4_
    .private_segment_fixed_size: 0
    .sgpr_count:     12
    .sgpr_spill_count: 0
    .symbol:         _Z6kernelI9broadcastN15benchmark_utils11custom_typeIidEELj64ELj64ELj100EEvPKT0_PS4_S4_.kd
    .uniform_work_group_size: 1
    .uses_dynamic_stack: false
    .vgpr_count:     7
    .vgpr_spill_count: 0
    .wavefront_size: 64
  - .args:
      - .address_space:  global
        .offset:         0
        .size:           8
        .value_kind:     global_buffer
      - .address_space:  global
        .offset:         8
        .size:           8
        .value_kind:     global_buffer
      - .offset:         16
        .size:           16
        .value_kind:     by_value
      - .offset:         32
        .size:           4
        .value_kind:     hidden_block_count_x
      - .offset:         36
        .size:           4
        .value_kind:     hidden_block_count_y
      - .offset:         40
        .size:           4
        .value_kind:     hidden_block_count_z
      - .offset:         44
        .size:           2
        .value_kind:     hidden_group_size_x
      - .offset:         46
        .size:           2
        .value_kind:     hidden_group_size_y
      - .offset:         48
        .size:           2
        .value_kind:     hidden_group_size_z
      - .offset:         50
        .size:           2
        .value_kind:     hidden_remainder_x
      - .offset:         52
        .size:           2
        .value_kind:     hidden_remainder_y
      - .offset:         54
        .size:           2
        .value_kind:     hidden_remainder_z
      - .offset:         72
        .size:           8
        .value_kind:     hidden_global_offset_x
      - .offset:         80
        .size:           8
        .value_kind:     hidden_global_offset_y
      - .offset:         88
        .size:           8
        .value_kind:     hidden_global_offset_z
      - .offset:         96
        .size:           2
        .value_kind:     hidden_grid_dims
    .group_segment_fixed_size: 0
    .kernarg_segment_align: 8
    .kernarg_segment_size: 288
    .language:       OpenCL C
    .language_version:
      - 2
      - 0
    .max_flat_workgroup_size: 128
    .name:           _Z6kernelI9broadcastN15benchmark_utils11custom_typeIidEELj128ELj64ELj100EEvPKT0_PS4_S4_
    .private_segment_fixed_size: 0
    .sgpr_count:     12
    .sgpr_spill_count: 0
    .symbol:         _Z6kernelI9broadcastN15benchmark_utils11custom_typeIidEELj128ELj64ELj100EEvPKT0_PS4_S4_.kd
    .uniform_work_group_size: 1
    .uses_dynamic_stack: false
    .vgpr_count:     7
    .vgpr_spill_count: 0
    .wavefront_size: 64
  - .args:
      - .address_space:  global
        .offset:         0
        .size:           8
        .value_kind:     global_buffer
      - .address_space:  global
        .offset:         8
        .size:           8
        .value_kind:     global_buffer
      - .offset:         16
        .size:           16
        .value_kind:     by_value
      - .offset:         32
        .size:           4
        .value_kind:     hidden_block_count_x
      - .offset:         36
        .size:           4
        .value_kind:     hidden_block_count_y
      - .offset:         40
        .size:           4
        .value_kind:     hidden_block_count_z
      - .offset:         44
        .size:           2
        .value_kind:     hidden_group_size_x
      - .offset:         46
        .size:           2
        .value_kind:     hidden_group_size_y
      - .offset:         48
        .size:           2
        .value_kind:     hidden_group_size_z
      - .offset:         50
        .size:           2
        .value_kind:     hidden_remainder_x
      - .offset:         52
        .size:           2
        .value_kind:     hidden_remainder_y
      - .offset:         54
        .size:           2
        .value_kind:     hidden_remainder_z
      - .offset:         72
        .size:           8
        .value_kind:     hidden_global_offset_x
      - .offset:         80
        .size:           8
        .value_kind:     hidden_global_offset_y
      - .offset:         88
        .size:           8
        .value_kind:     hidden_global_offset_z
      - .offset:         96
        .size:           2
        .value_kind:     hidden_grid_dims
    .group_segment_fixed_size: 0
    .kernarg_segment_align: 8
    .kernarg_segment_size: 288
    .language:       OpenCL C
    .language_version:
      - 2
      - 0
    .max_flat_workgroup_size: 256
    .name:           _Z6kernelI9broadcastN15benchmark_utils11custom_typeIidEELj256ELj64ELj100EEvPKT0_PS4_S4_
    .private_segment_fixed_size: 0
    .sgpr_count:     12
    .sgpr_spill_count: 0
    .symbol:         _Z6kernelI9broadcastN15benchmark_utils11custom_typeIidEELj256ELj64ELj100EEvPKT0_PS4_S4_.kd
    .uniform_work_group_size: 1
    .uses_dynamic_stack: false
    .vgpr_count:     7
    .vgpr_spill_count: 0
    .wavefront_size: 64
amdhsa.target:   amdgcn-amd-amdhsa--gfx906
amdhsa.version:
  - 1
  - 2
...

	.end_amdgpu_metadata
